;; amdgpu-corpus repo=ROCm/rocFFT kind=compiled arch=gfx1201 opt=O3
	.text
	.amdgcn_target "amdgcn-amd-amdhsa--gfx1201"
	.amdhsa_code_object_version 6
	.protected	fft_rtc_fwd_len1200_factors_5_5_16_3_wgs_225_tpt_75_halfLds_sp_ip_CI_unitstride_sbrr_dirReg ; -- Begin function fft_rtc_fwd_len1200_factors_5_5_16_3_wgs_225_tpt_75_halfLds_sp_ip_CI_unitstride_sbrr_dirReg
	.globl	fft_rtc_fwd_len1200_factors_5_5_16_3_wgs_225_tpt_75_halfLds_sp_ip_CI_unitstride_sbrr_dirReg
	.p2align	8
	.type	fft_rtc_fwd_len1200_factors_5_5_16_3_wgs_225_tpt_75_halfLds_sp_ip_CI_unitstride_sbrr_dirReg,@function
fft_rtc_fwd_len1200_factors_5_5_16_3_wgs_225_tpt_75_halfLds_sp_ip_CI_unitstride_sbrr_dirReg: ; @fft_rtc_fwd_len1200_factors_5_5_16_3_wgs_225_tpt_75_halfLds_sp_ip_CI_unitstride_sbrr_dirReg
; %bb.0:
	s_load_b128 s[4:7], s[0:1], 0x0
	v_mul_u32_u24_e32 v1, 0x36a, v0
	s_clause 0x1
	s_load_b64 s[8:9], s[0:1], 0x50
	s_load_b64 s[10:11], s[0:1], 0x18
	v_mov_b32_e32 v6, 0
	v_lshrrev_b32_e32 v1, 16, v1
	s_delay_alu instid0(VALU_DEP_1) | instskip(SKIP_3) | instid1(VALU_DEP_1)
	v_mad_co_u64_u32 v[2:3], null, ttmp9, 3, v[1:2]
	v_mov_b32_e32 v4, 0
	v_mov_b32_e32 v5, 0
	;; [unrolled: 1-line block ×4, first 2 shown]
	s_wait_kmcnt 0x0
	v_cmp_lt_u64_e64 s2, s[6:7], 2
	v_mov_b32_e32 v10, v2
	s_delay_alu instid0(VALU_DEP_2)
	s_and_b32 vcc_lo, exec_lo, s2
	s_cbranch_vccnz .LBB0_8
; %bb.1:
	s_load_b64 s[2:3], s[0:1], 0x10
	v_dual_mov_b32 v4, 0 :: v_dual_mov_b32 v9, v3
	v_dual_mov_b32 v5, 0 :: v_dual_mov_b32 v8, v2
	s_add_nc_u64 s[12:13], s[10:11], 8
	s_mov_b64 s[14:15], 1
	s_wait_kmcnt 0x0
	s_add_nc_u64 s[16:17], s[2:3], 8
	s_mov_b32 s3, 0
.LBB0_2:                                ; =>This Inner Loop Header: Depth=1
	s_load_b64 s[18:19], s[16:17], 0x0
                                        ; implicit-def: $vgpr10_vgpr11
	s_mov_b32 s2, exec_lo
	s_wait_kmcnt 0x0
	v_or_b32_e32 v7, s19, v9
	s_delay_alu instid0(VALU_DEP_1)
	v_cmpx_ne_u64_e32 0, v[6:7]
	s_wait_alu 0xfffe
	s_xor_b32 s20, exec_lo, s2
	s_cbranch_execz .LBB0_4
; %bb.3:                                ;   in Loop: Header=BB0_2 Depth=1
	s_cvt_f32_u32 s2, s18
	s_cvt_f32_u32 s21, s19
	s_sub_nc_u64 s[24:25], 0, s[18:19]
	s_wait_alu 0xfffe
	s_delay_alu instid0(SALU_CYCLE_1) | instskip(SKIP_1) | instid1(SALU_CYCLE_2)
	s_fmamk_f32 s2, s21, 0x4f800000, s2
	s_wait_alu 0xfffe
	v_s_rcp_f32 s2, s2
	s_delay_alu instid0(TRANS32_DEP_1) | instskip(SKIP_1) | instid1(SALU_CYCLE_2)
	s_mul_f32 s2, s2, 0x5f7ffffc
	s_wait_alu 0xfffe
	s_mul_f32 s21, s2, 0x2f800000
	s_wait_alu 0xfffe
	s_delay_alu instid0(SALU_CYCLE_2) | instskip(SKIP_1) | instid1(SALU_CYCLE_2)
	s_trunc_f32 s21, s21
	s_wait_alu 0xfffe
	s_fmamk_f32 s2, s21, 0xcf800000, s2
	s_cvt_u32_f32 s23, s21
	s_wait_alu 0xfffe
	s_delay_alu instid0(SALU_CYCLE_1) | instskip(SKIP_1) | instid1(SALU_CYCLE_2)
	s_cvt_u32_f32 s22, s2
	s_wait_alu 0xfffe
	s_mul_u64 s[26:27], s[24:25], s[22:23]
	s_wait_alu 0xfffe
	s_mul_hi_u32 s29, s22, s27
	s_mul_i32 s28, s22, s27
	s_mul_hi_u32 s2, s22, s26
	s_mul_i32 s30, s23, s26
	s_wait_alu 0xfffe
	s_add_nc_u64 s[28:29], s[2:3], s[28:29]
	s_mul_hi_u32 s21, s23, s26
	s_mul_hi_u32 s31, s23, s27
	s_add_co_u32 s2, s28, s30
	s_wait_alu 0xfffe
	s_add_co_ci_u32 s2, s29, s21
	s_mul_i32 s26, s23, s27
	s_add_co_ci_u32 s27, s31, 0
	s_wait_alu 0xfffe
	s_add_nc_u64 s[26:27], s[2:3], s[26:27]
	s_wait_alu 0xfffe
	v_add_co_u32 v1, s2, s22, s26
	s_delay_alu instid0(VALU_DEP_1) | instskip(SKIP_1) | instid1(VALU_DEP_1)
	s_cmp_lg_u32 s2, 0
	s_add_co_ci_u32 s23, s23, s27
	v_readfirstlane_b32 s22, v1
	s_wait_alu 0xfffe
	s_delay_alu instid0(VALU_DEP_1)
	s_mul_u64 s[24:25], s[24:25], s[22:23]
	s_wait_alu 0xfffe
	s_mul_hi_u32 s27, s22, s25
	s_mul_i32 s26, s22, s25
	s_mul_hi_u32 s2, s22, s24
	s_mul_i32 s28, s23, s24
	s_wait_alu 0xfffe
	s_add_nc_u64 s[26:27], s[2:3], s[26:27]
	s_mul_hi_u32 s21, s23, s24
	s_mul_hi_u32 s22, s23, s25
	s_wait_alu 0xfffe
	s_add_co_u32 s2, s26, s28
	s_add_co_ci_u32 s2, s27, s21
	s_mul_i32 s24, s23, s25
	s_add_co_ci_u32 s25, s22, 0
	s_wait_alu 0xfffe
	s_add_nc_u64 s[24:25], s[2:3], s[24:25]
	s_wait_alu 0xfffe
	v_add_co_u32 v1, s2, v1, s24
	s_delay_alu instid0(VALU_DEP_1) | instskip(SKIP_1) | instid1(VALU_DEP_1)
	s_cmp_lg_u32 s2, 0
	s_add_co_ci_u32 s2, s23, s25
	v_mul_hi_u32 v3, v8, v1
	s_wait_alu 0xfffe
	v_mad_co_u64_u32 v[10:11], null, v8, s2, 0
	v_mad_co_u64_u32 v[12:13], null, v9, v1, 0
	;; [unrolled: 1-line block ×3, first 2 shown]
	s_delay_alu instid0(VALU_DEP_3) | instskip(SKIP_1) | instid1(VALU_DEP_4)
	v_add_co_u32 v1, vcc_lo, v3, v10
	s_wait_alu 0xfffd
	v_add_co_ci_u32_e32 v3, vcc_lo, 0, v11, vcc_lo
	s_delay_alu instid0(VALU_DEP_2) | instskip(SKIP_1) | instid1(VALU_DEP_2)
	v_add_co_u32 v1, vcc_lo, v1, v12
	s_wait_alu 0xfffd
	v_add_co_ci_u32_e32 v1, vcc_lo, v3, v13, vcc_lo
	s_wait_alu 0xfffd
	v_add_co_ci_u32_e32 v3, vcc_lo, 0, v15, vcc_lo
	s_delay_alu instid0(VALU_DEP_2) | instskip(SKIP_1) | instid1(VALU_DEP_2)
	v_add_co_u32 v1, vcc_lo, v1, v14
	s_wait_alu 0xfffd
	v_add_co_ci_u32_e32 v3, vcc_lo, 0, v3, vcc_lo
	s_delay_alu instid0(VALU_DEP_2) | instskip(SKIP_1) | instid1(VALU_DEP_3)
	v_mul_lo_u32 v7, s19, v1
	v_mad_co_u64_u32 v[10:11], null, s18, v1, 0
	v_mul_lo_u32 v12, s18, v3
	s_delay_alu instid0(VALU_DEP_2) | instskip(NEXT) | instid1(VALU_DEP_2)
	v_sub_co_u32 v10, vcc_lo, v8, v10
	v_add3_u32 v7, v11, v12, v7
	s_delay_alu instid0(VALU_DEP_1) | instskip(SKIP_1) | instid1(VALU_DEP_1)
	v_sub_nc_u32_e32 v11, v9, v7
	s_wait_alu 0xfffd
	v_subrev_co_ci_u32_e64 v11, s2, s19, v11, vcc_lo
	v_add_co_u32 v12, s2, v1, 2
	s_wait_alu 0xf1ff
	v_add_co_ci_u32_e64 v13, s2, 0, v3, s2
	v_sub_co_u32 v14, s2, v10, s18
	v_sub_co_ci_u32_e32 v7, vcc_lo, v9, v7, vcc_lo
	s_wait_alu 0xf1ff
	v_subrev_co_ci_u32_e64 v11, s2, 0, v11, s2
	s_delay_alu instid0(VALU_DEP_3) | instskip(NEXT) | instid1(VALU_DEP_3)
	v_cmp_le_u32_e32 vcc_lo, s18, v14
	v_cmp_eq_u32_e64 s2, s19, v7
	s_wait_alu 0xfffd
	v_cndmask_b32_e64 v14, 0, -1, vcc_lo
	v_cmp_le_u32_e32 vcc_lo, s19, v11
	s_wait_alu 0xfffd
	v_cndmask_b32_e64 v15, 0, -1, vcc_lo
	v_cmp_le_u32_e32 vcc_lo, s18, v10
	;; [unrolled: 3-line block ×3, first 2 shown]
	s_wait_alu 0xfffd
	v_cndmask_b32_e64 v16, 0, -1, vcc_lo
	v_cmp_eq_u32_e32 vcc_lo, s19, v11
	s_wait_alu 0xf1ff
	s_delay_alu instid0(VALU_DEP_2)
	v_cndmask_b32_e64 v7, v16, v10, s2
	s_wait_alu 0xfffd
	v_cndmask_b32_e32 v11, v15, v14, vcc_lo
	v_add_co_u32 v14, vcc_lo, v1, 1
	s_wait_alu 0xfffd
	v_add_co_ci_u32_e32 v15, vcc_lo, 0, v3, vcc_lo
	s_delay_alu instid0(VALU_DEP_3) | instskip(SKIP_2) | instid1(VALU_DEP_3)
	v_cmp_ne_u32_e32 vcc_lo, 0, v11
	s_wait_alu 0xfffd
	v_cndmask_b32_e32 v12, v14, v12, vcc_lo
	v_cndmask_b32_e32 v10, v15, v13, vcc_lo
	v_cmp_ne_u32_e32 vcc_lo, 0, v7
	s_wait_alu 0xfffd
	s_delay_alu instid0(VALU_DEP_2)
	v_dual_cndmask_b32 v11, v3, v10 :: v_dual_cndmask_b32 v10, v1, v12
.LBB0_4:                                ;   in Loop: Header=BB0_2 Depth=1
	s_wait_alu 0xfffe
	s_and_not1_saveexec_b32 s2, s20
	s_cbranch_execz .LBB0_6
; %bb.5:                                ;   in Loop: Header=BB0_2 Depth=1
	v_cvt_f32_u32_e32 v1, s18
	s_sub_co_i32 s20, 0, s18
	v_mov_b32_e32 v11, v6
	s_delay_alu instid0(VALU_DEP_2) | instskip(NEXT) | instid1(TRANS32_DEP_1)
	v_rcp_iflag_f32_e32 v1, v1
	v_mul_f32_e32 v1, 0x4f7ffffe, v1
	s_delay_alu instid0(VALU_DEP_1) | instskip(SKIP_1) | instid1(VALU_DEP_1)
	v_cvt_u32_f32_e32 v1, v1
	s_wait_alu 0xfffe
	v_mul_lo_u32 v3, s20, v1
	s_delay_alu instid0(VALU_DEP_1) | instskip(NEXT) | instid1(VALU_DEP_1)
	v_mul_hi_u32 v3, v1, v3
	v_add_nc_u32_e32 v1, v1, v3
	s_delay_alu instid0(VALU_DEP_1) | instskip(NEXT) | instid1(VALU_DEP_1)
	v_mul_hi_u32 v1, v8, v1
	v_mul_lo_u32 v3, v1, s18
	v_add_nc_u32_e32 v7, 1, v1
	s_delay_alu instid0(VALU_DEP_2) | instskip(NEXT) | instid1(VALU_DEP_1)
	v_sub_nc_u32_e32 v3, v8, v3
	v_cmp_le_u32_e32 vcc_lo, s18, v3
	v_subrev_nc_u32_e32 v10, s18, v3
	s_wait_alu 0xfffd
	v_cndmask_b32_e32 v1, v1, v7, vcc_lo
	s_delay_alu instid0(VALU_DEP_1) | instskip(NEXT) | instid1(VALU_DEP_3)
	v_add_nc_u32_e32 v7, 1, v1
	v_cndmask_b32_e32 v3, v3, v10, vcc_lo
	s_delay_alu instid0(VALU_DEP_1) | instskip(SKIP_1) | instid1(VALU_DEP_3)
	v_cmp_le_u32_e32 vcc_lo, s18, v3
	s_wait_alu 0xfffd
	v_cndmask_b32_e32 v10, v1, v7, vcc_lo
.LBB0_6:                                ;   in Loop: Header=BB0_2 Depth=1
	s_wait_alu 0xfffe
	s_or_b32 exec_lo, exec_lo, s2
	s_load_b64 s[20:21], s[12:13], 0x0
	v_mul_lo_u32 v1, v11, s18
	v_mul_lo_u32 v3, v10, s19
	v_mad_co_u64_u32 v[12:13], null, v10, s18, 0
	s_add_nc_u64 s[14:15], s[14:15], 1
	s_add_nc_u64 s[12:13], s[12:13], 8
	s_wait_alu 0xfffe
	v_cmp_ge_u64_e64 s2, s[14:15], s[6:7]
	s_add_nc_u64 s[16:17], s[16:17], 8
	s_delay_alu instid0(VALU_DEP_2) | instskip(NEXT) | instid1(VALU_DEP_3)
	v_add3_u32 v1, v13, v3, v1
	v_sub_co_u32 v3, vcc_lo, v8, v12
	s_wait_alu 0xfffd
	s_delay_alu instid0(VALU_DEP_2) | instskip(SKIP_3) | instid1(VALU_DEP_2)
	v_sub_co_ci_u32_e32 v1, vcc_lo, v9, v1, vcc_lo
	s_and_b32 vcc_lo, exec_lo, s2
	s_wait_kmcnt 0x0
	v_mul_lo_u32 v7, s21, v3
	v_mul_lo_u32 v1, s20, v1
	v_mad_co_u64_u32 v[4:5], null, s20, v3, v[4:5]
	s_delay_alu instid0(VALU_DEP_1)
	v_add3_u32 v5, v7, v5, v1
	s_wait_alu 0xfffe
	s_cbranch_vccnz .LBB0_8
; %bb.7:                                ;   in Loop: Header=BB0_2 Depth=1
	v_dual_mov_b32 v8, v10 :: v_dual_mov_b32 v9, v11
	s_branch .LBB0_2
.LBB0_8:
	s_lshl_b64 s[2:3], s[6:7], 3
                                        ; implicit-def: $vgpr12
                                        ; implicit-def: $vgpr54
                                        ; implicit-def: $vgpr56
                                        ; implicit-def: $vgpr58
                                        ; implicit-def: $vgpr60
                                        ; implicit-def: $vgpr16
                                        ; implicit-def: $vgpr46
                                        ; implicit-def: $vgpr48
                                        ; implicit-def: $vgpr50
                                        ; implicit-def: $vgpr52
                                        ; implicit-def: $vgpr18
                                        ; implicit-def: $vgpr9
                                        ; implicit-def: $vgpr42
                                        ; implicit-def: $vgpr40
                                        ; implicit-def: $vgpr44
                                        ; implicit-def: $vgpr32
                                        ; implicit-def: $vgpr38
                                        ; implicit-def: $vgpr36
                                        ; implicit-def: $vgpr34
	s_wait_alu 0xfffe
	s_add_nc_u64 s[2:3], s[10:11], s[2:3]
	s_load_b64 s[2:3], s[2:3], 0x0
	s_load_b64 s[0:1], s[0:1], 0x20
	s_wait_kmcnt 0x0
	v_mul_lo_u32 v1, s2, v11
	v_mul_lo_u32 v6, s3, v10
	v_mad_co_u64_u32 v[3:4], null, s2, v10, v[4:5]
	v_mul_hi_u32 v5, 0x369d037, v0
	v_cmp_gt_u64_e32 vcc_lo, s[0:1], v[10:11]
	s_delay_alu instid0(VALU_DEP_3) | instskip(NEXT) | instid1(VALU_DEP_3)
	v_add3_u32 v4, v6, v4, v1
	v_mul_u32_u24_e32 v1, 0x4b, v5
	s_delay_alu instid0(VALU_DEP_2) | instskip(NEXT) | instid1(VALU_DEP_2)
	v_lshlrev_b64_e32 v[6:7], 3, v[3:4]
	v_sub_nc_u32_e32 v4, v0, v1
                                        ; implicit-def: $vgpr1
	s_and_saveexec_b32 s1, vcc_lo
	s_cbranch_execz .LBB0_12
; %bb.9:
	v_mov_b32_e32 v5, 0
	s_delay_alu instid0(VALU_DEP_3) | instskip(SKIP_1) | instid1(VALU_DEP_2)
	v_add_co_u32 v3, s0, s8, v6
	s_mov_b32 s2, exec_lo
                                        ; implicit-def: $vgpr33
                                        ; implicit-def: $vgpr35
                                        ; implicit-def: $vgpr37
                                        ; implicit-def: $vgpr31
	v_lshlrev_b64_e32 v[0:1], 3, v[4:5]
	s_wait_alu 0xf1ff
	v_add_co_ci_u32_e64 v5, s0, s9, v7, s0
	s_delay_alu instid0(VALU_DEP_2) | instskip(SKIP_1) | instid1(VALU_DEP_2)
	v_add_co_u32 v13, s0, v3, v0
	s_wait_alu 0xf1ff
	v_add_co_ci_u32_e64 v14, s0, v5, v1, s0
                                        ; implicit-def: $vgpr0
	s_clause 0xe
	global_load_b64 v[11:12], v[13:14], off
	global_load_b64 v[15:16], v[13:14], off offset:600
	global_load_b64 v[45:46], v[13:14], off offset:2520
	;; [unrolled: 1-line block ×14, first 2 shown]
	v_cmpx_gt_u32_e32 15, v4
; %bb.10:
	s_clause 0x4
	global_load_b64 v[0:1], v[13:14], off offset:1800
	global_load_b64 v[33:34], v[13:14], off offset:3720
	;; [unrolled: 1-line block ×5, first 2 shown]
; %bb.11:
	s_wait_alu 0xfffe
	s_or_b32 exec_lo, exec_lo, s2
.LBB0_12:
	s_wait_alu 0xfffe
	s_or_b32 exec_lo, exec_lo, s1
	v_mul_hi_u32 v3, 0xaaaaaaab, v2
	s_wait_loadcnt 0x4
	v_dual_add_f32 v5, v11, v53 :: v_dual_sub_f32 v14, v56, v58
	s_wait_loadcnt 0x2
	v_dual_add_f32 v10, v55, v57 :: v_dual_sub_f32 v13, v54, v60
	v_dual_sub_f32 v19, v53, v55 :: v_dual_sub_f32 v20, v59, v57
	s_delay_alu instid0(VALU_DEP_3) | instskip(SKIP_1) | instid1(VALU_DEP_4)
	v_dual_sub_f32 v22, v55, v53 :: v_dual_add_f32 v5, v5, v55
	v_lshrrev_b32_e32 v3, 1, v3
	v_fma_f32 v21, -0.5, v10, v11
	s_delay_alu instid0(VALU_DEP_4) | instskip(NEXT) | instid1(VALU_DEP_4)
	v_dual_add_f32 v10, v53, v59 :: v_dual_add_f32 v19, v19, v20
	v_add_f32_e32 v5, v5, v57
	s_delay_alu instid0(VALU_DEP_4) | instskip(NEXT) | instid1(VALU_DEP_4)
	v_lshl_add_u32 v3, v3, 1, v3
	v_fmamk_f32 v23, v13, 0x3f737871, v21
	s_delay_alu instid0(VALU_DEP_4) | instskip(NEXT) | instid1(VALU_DEP_4)
	v_dual_fmac_f32 v11, -0.5, v10 :: v_dual_add_f32 v10, v47, v49
	v_add_f32_e32 v24, v5, v59
	s_delay_alu instid0(VALU_DEP_4) | instskip(NEXT) | instid1(VALU_DEP_4)
	v_sub_nc_u32_e32 v2, v2, v3
	v_fmac_f32_e32 v23, 0x3f167918, v14
	s_delay_alu instid0(VALU_DEP_4)
	v_fmamk_f32 v20, v14, 0xbf737871, v11
	v_fmac_f32_e32 v11, 0x3f737871, v14
	v_sub_f32_e32 v25, v45, v47
	v_mul_u32_u24_e32 v5, 0x4b0, v2
	v_dual_sub_f32 v2, v57, v59 :: v_dual_fmac_f32 v21, 0xbf737871, v13
	v_fmac_f32_e32 v20, 0x3f167918, v13
	s_wait_loadcnt 0x1
	v_dual_fmac_f32 v23, 0x3e9e377a, v19 :: v_dual_sub_f32 v26, v51, v49
	s_delay_alu instid0(VALU_DEP_3) | instskip(SKIP_3) | instid1(VALU_DEP_4)
	v_dual_add_f32 v2, v22, v2 :: v_dual_add_f32 v3, v15, v45
	v_fmac_f32_e32 v21, 0xbf167918, v14
	v_fma_f32 v22, -0.5, v10, v15
	v_sub_f32_e32 v10, v46, v52
	v_dual_fmac_f32 v20, 0x3e9e377a, v2 :: v_dual_add_f32 v3, v3, v47
	s_delay_alu instid0(VALU_DEP_4) | instskip(SKIP_1) | instid1(VALU_DEP_4)
	v_dual_fmac_f32 v21, 0x3e9e377a, v19 :: v_dual_sub_f32 v14, v48, v50
	v_fmac_f32_e32 v11, 0xbf167918, v13
	v_fmamk_f32 v19, v10, 0x3f737871, v22
	s_delay_alu instid0(VALU_DEP_4) | instskip(SKIP_2) | instid1(VALU_DEP_3)
	v_dual_add_f32 v3, v3, v49 :: v_dual_fmac_f32 v22, 0xbf737871, v10
	v_add_f32_e32 v13, v45, v51
	s_wait_loadcnt 0x0
	v_dual_add_f32 v30, v8, v43 :: v_dual_fmac_f32 v19, 0x3f167918, v14
	s_delay_alu instid0(VALU_DEP_3)
	v_add_f32_e32 v27, v3, v51
	v_dual_sub_f32 v3, v47, v45 :: v_dual_fmac_f32 v22, 0xbf167918, v14
	v_fmac_f32_e32 v15, -0.5, v13
	v_sub_f32_e32 v13, v49, v51
	v_sub_f32_e32 v63, v34, v32
	v_add_f32_e32 v61, v33, v0
	v_cmp_gt_u32_e64 s0, 15, v4
	s_delay_alu instid0(VALU_DEP_4)
	v_dual_sub_f32 v66, v37, v31 :: v_dual_add_f32 v3, v3, v13
	v_add_f32_e32 v13, v17, v8
	v_fmac_f32_e32 v11, 0x3e9e377a, v2
	v_add_f32_e32 v2, v25, v26
	v_add_f32_e32 v26, v41, v39
	v_sub_f32_e32 v62, v31, v37
	s_delay_alu instid0(VALU_DEP_3) | instskip(NEXT) | instid1(VALU_DEP_3)
	v_fmac_f32_e32 v22, 0x3e9e377a, v2
	v_fma_f32 v26, -0.5, v26, v17
	v_fmamk_f32 v25, v14, 0xbf737871, v15
	v_dual_fmac_f32 v15, 0x3f737871, v14 :: v_dual_sub_f32 v14, v9, v44
	v_fmac_f32_e32 v17, -0.5, v30
	s_delay_alu instid0(VALU_DEP_2) | instskip(NEXT) | instid1(VALU_DEP_3)
	v_fmac_f32_e32 v15, 0xbf167918, v10
	v_fmamk_f32 v28, v14, 0x3f737871, v26
	v_fmac_f32_e32 v26, 0xbf737871, v14
	v_dual_fmac_f32 v25, 0x3f167918, v10 :: v_dual_sub_f32 v10, v42, v40
	s_delay_alu instid0(VALU_DEP_1)
	v_fmac_f32_e32 v28, 0x3f167918, v10
	v_fmac_f32_e32 v19, 0x3e9e377a, v2
	v_fmamk_f32 v30, v10, 0xbf737871, v17
	v_add_f32_e32 v2, v13, v41
	v_dual_sub_f32 v13, v8, v41 :: v_dual_fmac_f32 v26, 0xbf167918, v10
	v_dual_fmac_f32 v17, 0x3f737871, v10 :: v_dual_add_f32 v10, v35, v61
	v_sub_f32_e32 v29, v43, v39
	s_delay_alu instid0(VALU_DEP_4) | instskip(SKIP_1) | instid1(VALU_DEP_4)
	v_add_f32_e32 v2, v2, v39
	v_fmac_f32_e32 v30, 0x3f167918, v14
	v_dual_fmac_f32 v17, 0xbf167918, v14 :: v_dual_add_f32 v14, v31, v33
	v_add_f32_e32 v10, v37, v10
	v_add_f32_e32 v13, v13, v29
	;; [unrolled: 1-line block ×4, first 2 shown]
	v_fmac_f32_e32 v25, 0x3e9e377a, v3
	s_delay_alu instid0(VALU_DEP_4) | instskip(SKIP_4) | instid1(VALU_DEP_1)
	v_dual_fmac_f32 v15, 0x3e9e377a, v3 :: v_dual_fmac_f32 v28, 0x3e9e377a, v13
	v_dual_fmac_f32 v26, 0x3e9e377a, v13 :: v_dual_sub_f32 v3, v41, v8
	v_sub_f32_e32 v13, v39, v43
	v_fma_f32 v64, -0.5, v2, v0
	v_dual_fmac_f32 v0, -0.5, v14 :: v_dual_sub_f32 v61, v33, v35
	v_add_f32_e32 v61, v62, v61
	v_lshlrev_b32_e32 v62, 2, v5
	v_dual_add_f32 v2, v3, v13 :: v_dual_sub_f32 v13, v36, v38
	s_delay_alu instid0(VALU_DEP_1) | instskip(NEXT) | instid1(VALU_DEP_2)
	v_fmac_f32_e32 v30, 0x3e9e377a, v2
	v_fmamk_f32 v14, v13, 0xbf737871, v0
	v_fmamk_f32 v3, v63, 0x3f737871, v64
	v_fmac_f32_e32 v64, 0xbf737871, v63
	s_delay_alu instid0(VALU_DEP_3) | instskip(SKIP_1) | instid1(VALU_DEP_3)
	v_fmac_f32_e32 v14, 0x3f167918, v63
	v_fmac_f32_e32 v0, 0x3f737871, v13
	v_fmac_f32_e32 v64, 0xbf167918, v13
	v_fmac_f32_e32 v3, 0x3f167918, v13
	s_delay_alu instid0(VALU_DEP_3) | instskip(NEXT) | instid1(VALU_DEP_3)
	v_fmac_f32_e32 v0, 0xbf167918, v63
	v_dual_fmac_f32 v17, 0x3e9e377a, v2 :: v_dual_fmac_f32 v64, 0x3e9e377a, v61
	v_add_f32_e32 v2, v31, v10
	v_mad_u32_u24 v10, v4, 20, 0
	v_sub_f32_e32 v65, v35, v33
	v_fmac_f32_e32 v3, 0x3e9e377a, v61
	s_delay_alu instid0(VALU_DEP_3) | instskip(NEXT) | instid1(VALU_DEP_3)
	v_add_nc_u32_e32 v13, v10, v62
	v_dual_add_f32 v65, v66, v65 :: v_dual_add_nc_u32 v10, 0xbb8, v10
	s_delay_alu instid0(VALU_DEP_1) | instskip(NEXT) | instid1(VALU_DEP_3)
	v_fmac_f32_e32 v14, 0x3e9e377a, v65
	v_add_nc_u32_e32 v61, 0x5e4, v13
	s_delay_alu instid0(VALU_DEP_3)
	v_dual_fmac_f32 v0, 0x3e9e377a, v65 :: v_dual_add_nc_u32 v65, v10, v62
	v_add_nc_u32_e32 v66, 0x5dc, v13
	ds_store_2addr_b32 v61, v25, v15 offset1:1
	ds_store_2addr_b32 v13, v24, v23 offset1:1
	ds_store_2addr_b32 v13, v20, v11 offset0:2 offset1:3
	ds_store_b32 v13, v21 offset:16
	ds_store_b32 v13, v22 offset:1516
	ds_store_2addr_b32 v66, v27, v19 offset1:1
	ds_store_2addr_b32 v65, v29, v28 offset1:1
	ds_store_2addr_b32 v65, v30, v17 offset0:2 offset1:3
	ds_store_b32 v65, v26 offset:16
	s_and_saveexec_b32 s1, s0
	s_cbranch_execz .LBB0_14
; %bb.13:
	v_lshl_add_u32 v5, v5, 2, v10
	s_delay_alu instid0(VALU_DEP_1)
	v_add_nc_u32_e32 v10, 0x5e4, v5
	v_add_nc_u32_e32 v11, 0x5dc, v5
	ds_store_2addr_b32 v10, v14, v0 offset1:1
	ds_store_2addr_b32 v11, v2, v3 offset1:1
	ds_store_b32 v5, v64 offset:1516
.LBB0_14:
	s_wait_alu 0xfffe
	s_or_b32 exec_lo, exec_lo, s1
	v_lshlrev_b32_e32 v5, 2, v4
	global_wb scope:SCOPE_SE
	s_wait_dscnt 0x0
	s_barrier_signal -1
	s_barrier_wait -1
	global_inv scope:SCOPE_SE
	v_add3_u32 v61, 0, v62, v5
	v_add3_u32 v5, 0, v5, v62
	ds_load_b32 v63, v61
	v_add_nc_u32_e32 v10, 0x200, v5
	v_add_nc_u32_e32 v11, 0x400, v5
	;; [unrolled: 1-line block ×6, first 2 shown]
	ds_load_2addr_b32 v[29:30], v10 offset0:112 offset1:187
	ds_load_2addr_b32 v[23:24], v11 offset0:134 offset1:224
	;; [unrolled: 1-line block ×7, first 2 shown]
	s_and_saveexec_b32 s1, s0
	s_cbranch_execz .LBB0_16
; %bb.15:
	v_add_nc_u32_e32 v0, 0xb00, v5
	v_add_nc_u32_e32 v2, 0x380, v5
	ds_load_2addr_b32 v[14:15], v0 offset0:1 offset1:241
	ds_load_2addr_b32 v[2:3], v2 offset0:1 offset1:241
	ds_load_b32 v64, v5 offset:4740
	s_wait_dscnt 0x2
	v_mov_b32_e32 v0, v15
.LBB0_16:
	s_wait_alu 0xfffe
	s_or_b32 exec_lo, exec_lo, s1
	v_sub_f32_e32 v53, v53, v59
	v_sub_f32_e32 v55, v55, v57
	;; [unrolled: 1-line block ×3, first 2 shown]
	v_add_f32_e32 v67, v54, v60
	v_add_f32_e32 v17, v12, v54
	v_sub_f32_e32 v54, v56, v54
	v_add_f32_e32 v15, v56, v58
	v_sub_f32_e32 v45, v45, v51
	v_sub_f32_e32 v47, v47, v49
	;; [unrolled: 1-line block ×4, first 2 shown]
	v_fma_f32 v59, -0.5, v15, v12
	v_dual_fmac_f32 v12, -0.5, v67 :: v_dual_sub_f32 v15, v60, v58
	v_add_f32_e32 v17, v17, v56
	s_delay_alu instid0(VALU_DEP_3)
	v_dual_add_f32 v67, v48, v50 :: v_dual_fmamk_f32 v56, v53, 0xbf737871, v59
	v_fmac_f32_e32 v59, 0x3f737871, v53
	v_sub_f32_e32 v41, v9, v42
	v_sub_f32_e32 v35, v35, v37
	;; [unrolled: 1-line block ×3, first 2 shown]
	v_fmac_f32_e32 v56, 0xbf167918, v55
	v_add_f32_e32 v15, v57, v15
	v_sub_f32_e32 v57, v58, v60
	v_add_f32_e32 v33, v32, v34
	v_sub_f32_e32 v37, v32, v38
	global_wb scope:SCOPE_SE
	s_wait_dscnt 0x0
	s_barrier_signal -1
	v_add_f32_e32 v54, v54, v57
	v_dual_fmac_f32 v56, 0x3e9e377a, v15 :: v_dual_add_f32 v17, v17, v58
	v_fmamk_f32 v58, v55, 0x3f737871, v12
	v_fmac_f32_e32 v12, 0xbf737871, v55
	s_barrier_wait -1
	global_inv scope:SCOPE_SE
	v_dual_add_f32 v17, v17, v60 :: v_dual_add_f32 v60, v16, v46
	v_fmac_f32_e32 v12, 0x3f167918, v53
	v_dual_fmac_f32 v58, 0xbf167918, v53 :: v_dual_add_f32 v53, v46, v52
	v_dual_sub_f32 v46, v48, v46 :: v_dual_fmac_f32 v59, 0x3f167918, v55
	s_delay_alu instid0(VALU_DEP_3) | instskip(SKIP_2) | instid1(VALU_DEP_4)
	v_dual_add_f32 v55, v60, v48 :: v_dual_fmac_f32 v12, 0x3e9e377a, v54
	v_sub_f32_e32 v48, v50, v52
	v_fma_f32 v57, -0.5, v67, v16
	v_dual_fmac_f32 v16, -0.5, v53 :: v_dual_fmac_f32 v59, 0x3e9e377a, v15
	s_delay_alu instid0(VALU_DEP_4) | instskip(SKIP_1) | instid1(VALU_DEP_4)
	v_add_f32_e32 v15, v55, v50
	v_dual_sub_f32 v55, v52, v50 :: v_dual_add_f32 v50, v42, v40
	v_dual_fmamk_f32 v51, v45, 0xbf737871, v57 :: v_dual_sub_f32 v8, v8, v43
	v_add_f32_e32 v46, v46, v48
	s_delay_alu instid0(VALU_DEP_4) | instskip(NEXT) | instid1(VALU_DEP_4)
	v_add_f32_e32 v53, v15, v52
	v_fma_f32 v50, -0.5, v50, v18
	v_fmac_f32_e32 v57, 0x3f737871, v45
	v_fmac_f32_e32 v58, 0x3e9e377a, v54
	s_delay_alu instid0(VALU_DEP_3) | instskip(SKIP_3) | instid1(VALU_DEP_4)
	v_fmamk_f32 v43, v8, 0xbf737871, v50
	v_fmac_f32_e32 v50, 0x3f737871, v8
	v_fmac_f32_e32 v51, 0xbf167918, v47
	;; [unrolled: 1-line block ×4, first 2 shown]
	s_delay_alu instid0(VALU_DEP_4) | instskip(SKIP_3) | instid1(VALU_DEP_2)
	v_fmac_f32_e32 v50, 0x3f167918, v39
	v_add_f32_e32 v15, v49, v55
	v_fmamk_f32 v49, v47, 0x3f737871, v16
	v_dual_fmac_f32 v16, 0xbf737871, v47 :: v_dual_add_f32 v47, v18, v9
	v_fmac_f32_e32 v49, 0xbf167918, v45
	s_delay_alu instid0(VALU_DEP_2) | instskip(NEXT) | instid1(VALU_DEP_1)
	v_dual_fmac_f32 v16, 0x3f167918, v45 :: v_dual_sub_f32 v45, v44, v40
	v_dual_fmac_f32 v16, 0x3e9e377a, v46 :: v_dual_add_f32 v41, v41, v45
	s_delay_alu instid0(VALU_DEP_1) | instskip(SKIP_4) | instid1(VALU_DEP_2)
	v_dual_fmac_f32 v50, 0x3e9e377a, v41 :: v_dual_fmac_f32 v51, 0x3e9e377a, v15
	v_fmac_f32_e32 v57, 0x3e9e377a, v15
	v_add_f32_e32 v15, v47, v42
	v_add_f32_e32 v47, v9, v44
	v_sub_f32_e32 v9, v42, v9
	v_dual_add_f32 v15, v15, v40 :: v_dual_fmac_f32 v18, -0.5, v47
	v_sub_f32_e32 v40, v40, v44
	s_delay_alu instid0(VALU_DEP_2) | instskip(SKIP_1) | instid1(VALU_DEP_1)
	v_add_f32_e32 v45, v15, v44
	v_add_f32_e32 v15, v38, v36
	v_fma_f32 v48, -0.5, v15, v1
	s_delay_alu instid0(VALU_DEP_4)
	v_add_f32_e32 v15, v9, v40
	v_fmac_f32_e32 v49, 0x3e9e377a, v46
	v_fmamk_f32 v46, v39, 0x3f737871, v18
	v_dual_fmac_f32 v18, 0xbf737871, v39 :: v_dual_add_f32 v39, v34, v1
	v_fmac_f32_e32 v1, -0.5, v33
	v_fmamk_f32 v9, v31, 0xbf737871, v48
	s_delay_alu instid0(VALU_DEP_4) | instskip(NEXT) | instid1(VALU_DEP_4)
	v_fmac_f32_e32 v46, 0xbf167918, v8
	v_fmac_f32_e32 v18, 0x3f167918, v8
	v_dual_add_f32 v8, v36, v39 :: v_dual_sub_f32 v33, v34, v36
	v_fmac_f32_e32 v48, 0x3f737871, v31
	s_delay_alu instid0(VALU_DEP_4) | instskip(NEXT) | instid1(VALU_DEP_4)
	v_fmac_f32_e32 v46, 0x3e9e377a, v15
	v_fmac_f32_e32 v18, 0x3e9e377a, v15
	v_dual_fmamk_f32 v15, v35, 0x3f737871, v1 :: v_dual_sub_f32 v34, v36, v34
	v_dual_sub_f32 v36, v38, v32 :: v_dual_fmac_f32 v1, 0xbf737871, v35
	v_dual_add_f32 v8, v38, v8 :: v_dual_fmac_f32 v9, 0xbf167918, v35
	v_dual_add_f32 v33, v37, v33 :: v_dual_fmac_f32 v48, 0x3f167918, v35
	s_delay_alu instid0(VALU_DEP_3) | instskip(NEXT) | instid1(VALU_DEP_3)
	v_dual_fmac_f32 v15, 0xbf167918, v31 :: v_dual_add_f32 v34, v36, v34
	v_dual_fmac_f32 v1, 0x3f167918, v31 :: v_dual_add_f32 v8, v32, v8
	v_fmac_f32_e32 v43, 0x3e9e377a, v41
	s_delay_alu instid0(VALU_DEP_4) | instskip(NEXT) | instid1(VALU_DEP_4)
	v_fmac_f32_e32 v9, 0x3e9e377a, v33
	v_dual_fmac_f32 v48, 0x3e9e377a, v33 :: v_dual_fmac_f32 v15, 0x3e9e377a, v34
	s_delay_alu instid0(VALU_DEP_4)
	v_fmac_f32_e32 v1, 0x3e9e377a, v34
	v_add_nc_u32_e32 v41, 0xe1, v4
	ds_store_2addr_b32 v13, v17, v56 offset1:1
	ds_store_2addr_b32 v13, v58, v12 offset0:2 offset1:3
	ds_store_b32 v13, v59 offset:16
	ds_store_2addr_b32 v66, v53, v51 offset1:1
	ds_store_2addr_b32 v66, v49, v16 offset0:2 offset1:3
	ds_store_b32 v66, v57 offset:16
	;; [unrolled: 3-line block ×3, first 2 shown]
	s_and_saveexec_b32 s1, s0
	s_cbranch_execz .LBB0_18
; %bb.17:
	v_mul_u32_u24_e32 v12, 20, v41
	s_delay_alu instid0(VALU_DEP_1)
	v_add3_u32 v12, 0, v12, v62
	ds_store_2addr_b32 v12, v8, v9 offset1:1
	ds_store_2addr_b32 v12, v15, v1 offset0:2 offset1:3
	ds_store_b32 v12, v48 offset:16
.LBB0_18:
	s_wait_alu 0xfffe
	s_or_b32 exec_lo, exec_lo, s1
	v_add_nc_u32_e32 v12, 0x200, v5
	global_wb scope:SCOPE_SE
	s_wait_dscnt 0x0
	s_barrier_signal -1
	s_barrier_wait -1
	global_inv scope:SCOPE_SE
	v_add_nc_u32_e32 v13, 0x400, v5
	ds_load_b32 v45, v61
	ds_load_2addr_b32 v[31:32], v12 offset0:112 offset1:187
	v_add_nc_u32_e32 v12, 0xa00, v5
	v_add_nc_u32_e32 v16, 0xc00, v5
	;; [unrolled: 1-line block ×4, first 2 shown]
	ds_load_2addr_b32 v[17:18], v13 offset0:134 offset1:224
	ds_load_2addr_b32 v[39:40], v12 offset0:80 offset1:155
	;; [unrolled: 1-line block ×6, first 2 shown]
	s_and_saveexec_b32 s1, s0
	s_cbranch_execz .LBB0_20
; %bb.19:
	v_add_nc_u32_e32 v1, 0xb00, v5
	v_add_nc_u32_e32 v8, 0x380, v5
	ds_load_2addr_b32 v[15:16], v1 offset0:1 offset1:241
	ds_load_2addr_b32 v[8:9], v8 offset0:1 offset1:241
	ds_load_b32 v48, v5 offset:4740
	s_wait_dscnt 0x2
	v_mov_b32_e32 v1, v16
.LBB0_20:
	s_wait_alu 0xfffe
	s_or_b32 exec_lo, exec_lo, s1
	v_and_b32_e32 v44, 0xff, v4
	s_delay_alu instid0(VALU_DEP_1) | instskip(NEXT) | instid1(VALU_DEP_1)
	v_mul_lo_u16 v16, 0xcd, v44
	v_lshrrev_b16 v16, 10, v16
	s_delay_alu instid0(VALU_DEP_1) | instskip(NEXT) | instid1(VALU_DEP_1)
	v_mul_lo_u16 v46, v16, 5
	v_sub_nc_u16 v46, v4, v46
	s_delay_alu instid0(VALU_DEP_1) | instskip(NEXT) | instid1(VALU_DEP_1)
	v_and_b32_e32 v46, 0xff, v46
	v_lshlrev_b32_e32 v50, 5, v46
	s_clause 0x1
	global_load_b128 v[65:68], v50, s[4:5]
	global_load_b128 v[69:72], v50, s[4:5] offset:16
	v_and_b32_e32 v42, 0xffff, v41
	v_add_nc_u32_e32 v43, 0x4b, v4
	s_delay_alu instid0(VALU_DEP_2) | instskip(NEXT) | instid1(VALU_DEP_2)
	v_mul_u32_u24_e32 v42, 0xcccd, v42
	v_and_b32_e32 v47, 0xff, v43
	s_delay_alu instid0(VALU_DEP_2) | instskip(NEXT) | instid1(VALU_DEP_1)
	v_lshrrev_b32_e32 v42, 18, v42
	v_mul_lo_u16 v42, v42, 5
	s_delay_alu instid0(VALU_DEP_1) | instskip(SKIP_2) | instid1(VALU_DEP_2)
	v_sub_nc_u16 v49, v41, v42
	v_add_nc_u32_e32 v42, 0x96, v4
	s_wait_loadcnt 0x1
	v_dual_mul_f32 v56, v24, v68 :: v_dual_and_b32 v49, 0xffff, v49
	s_wait_loadcnt_dscnt 0x3
	v_dual_mul_f32 v60, v34, v72 :: v_dual_mul_f32 v59, v39, v70
	v_and_b32_e32 v51, 0xff, v42
	v_mul_lo_u16 v47, 0xcd, v47
	v_lshlrev_b32_e32 v50, 5, v49
	s_delay_alu instid0(VALU_DEP_4)
	v_fma_f32 v60, v20, v71, -v60
	v_fma_f32 v59, v27, v69, -v59
	v_mul_lo_u16 v51, 0xcd, v51
	v_lshrrev_b16 v47, 10, v47
	s_clause 0x1
	global_load_b128 v[73:76], v50, s[4:5]
	global_load_b128 v[77:80], v50, s[4:5] offset:16
	v_fmac_f32_e32 v56, v18, v67
	v_lshrrev_b16 v51, 10, v51
	v_mul_lo_u16 v52, v47, 5
	s_delay_alu instid0(VALU_DEP_2) | instskip(NEXT) | instid1(VALU_DEP_2)
	v_mul_lo_u16 v50, v51, 5
	v_sub_nc_u16 v52, v43, v52
	v_and_b32_e32 v51, 0xffff, v51
	s_delay_alu instid0(VALU_DEP_3) | instskip(NEXT) | instid1(VALU_DEP_3)
	v_sub_nc_u16 v50, v42, v50
	v_and_b32_e32 v52, 0xff, v52
	s_delay_alu instid0(VALU_DEP_3) | instskip(NEXT) | instid1(VALU_DEP_3)
	v_mad_u32_u24 v51, 0x64, v51, 0
	v_and_b32_e32 v50, 0xff, v50
	s_delay_alu instid0(VALU_DEP_3) | instskip(NEXT) | instid1(VALU_DEP_2)
	v_lshlrev_b32_e32 v53, 5, v52
	v_lshlrev_b32_e32 v54, 5, v50
	s_clause 0x3
	global_load_b128 v[81:84], v53, s[4:5]
	global_load_b128 v[85:88], v53, s[4:5] offset:16
	global_load_b128 v[89:92], v54, s[4:5]
	global_load_b128 v[93:96], v54, s[4:5] offset:16
	v_lshlrev_b32_e32 v55, 2, v50
	v_and_b32_e32 v16, 0xffff, v16
	v_and_b32_e32 v53, 0xffff, v47
	v_and_b32_e32 v47, 0xff, v41
	global_wb scope:SCOPE_SE
	s_wait_loadcnt_dscnt 0x0
	v_add3_u32 v51, v51, v55, v62
	v_mul_f32_e32 v55, v29, v66
	v_mad_u32_u24 v16, 0x64, v16, 0
	s_barrier_signal -1
	s_barrier_wait -1
	global_inv scope:SCOPE_SE
	v_dual_fmac_f32 v55, v31, v65 :: v_dual_lshlrev_b32 v54, 2, v46
	v_lshlrev_b32_e32 v46, 2, v49
	s_delay_alu instid0(VALU_DEP_2) | instskip(SKIP_3) | instid1(VALU_DEP_3)
	v_add3_u32 v50, v16, v54, v62
	v_mul_f32_e32 v16, v31, v66
	v_mul_f32_e32 v54, v20, v72
	v_lshlrev_b32_e32 v49, 2, v52
	v_fma_f32 v57, v29, v65, -v16
	s_delay_alu instid0(VALU_DEP_3) | instskip(SKIP_4) | instid1(VALU_DEP_4)
	v_fmac_f32_e32 v54, v34, v71
	v_mul_f32_e32 v16, v15, v76
	v_mad_u32_u24 v53, 0x64, v53, 0
	v_dual_mul_f32 v31, v14, v76 :: v_dual_mul_f32 v34, v0, v78
	v_mul_f32_e32 v66, v9, v74
	v_fma_f32 v14, v14, v75, -v16
	s_delay_alu instid0(VALU_DEP_4) | instskip(SKIP_4) | instid1(VALU_DEP_4)
	v_add3_u32 v52, v53, v49, v62
	v_mul_f32_e32 v49, v18, v68
	v_mul_f32_e32 v53, v27, v70
	v_dual_mul_f32 v18, v1, v78 :: v_dual_mul_f32 v27, v48, v80
	v_fmac_f32_e32 v31, v15, v75
	v_fma_f32 v58, v24, v67, -v49
	v_dual_mul_f32 v49, v3, v74 :: v_dual_mul_f32 v24, v64, v80
	v_fmac_f32_e32 v53, v39, v69
	v_fma_f32 v0, v0, v77, -v18
	v_fma_f32 v3, v3, v73, -v66
	s_delay_alu instid0(VALU_DEP_4)
	v_dual_fmac_f32 v49, v9, v73 :: v_dual_fmac_f32 v24, v48, v79
	v_mul_f32_e32 v65, v32, v82
	v_dual_mul_f32 v20, v30, v82 :: v_dual_mul_f32 v67, v37, v84
	v_mul_f32_e32 v48, v40, v86
	v_mul_f32_e32 v29, v28, v86
	;; [unrolled: 1-line block ×3, first 2 shown]
	v_fmac_f32_e32 v34, v1, v77
	v_fma_f32 v1, v64, v79, -v27
	v_mul_f32_e32 v27, v25, v84
	v_mul_f32_e32 v64, v35, v88
	v_dual_mul_f32 v68, v17, v90 :: v_dual_mul_f32 v15, v22, v96
	v_dual_mul_f32 v16, v23, v90 :: v_dual_fmac_f32 v29, v40, v85
	v_mul_f32_e32 v69, v38, v92
	v_dual_mul_f32 v18, v26, v92 :: v_dual_mul_f32 v9, v19, v94
	v_dual_mul_f32 v70, v33, v94 :: v_dual_fmac_f32 v39, v35, v87
	v_mul_f32_e32 v66, v36, v96
	v_fma_f32 v30, v30, v81, -v65
	s_delay_alu instid0(VALU_DEP_4)
	v_fmac_f32_e32 v9, v33, v93
	v_dual_fmac_f32 v20, v32, v81 :: v_dual_add_f32 v35, v58, v59
	v_fma_f32 v25, v25, v83, -v67
	v_fmac_f32_e32 v27, v37, v83
	v_fma_f32 v28, v28, v85, -v48
	v_fma_f32 v32, v21, v87, -v64
	v_dual_fmac_f32 v16, v17, v89 :: v_dual_fmac_f32 v15, v36, v95
	v_fma_f32 v17, v26, v91, -v69
	v_dual_fmac_f32 v18, v38, v91 :: v_dual_add_f32 v33, v63, v57
	v_fma_f32 v19, v19, v93, -v70
	v_dual_sub_f32 v48, v55, v54 :: v_dual_sub_f32 v37, v60, v59
	v_dual_sub_f32 v36, v57, v58 :: v_dual_add_f32 v69, v3, v1
	v_dual_add_f32 v38, v57, v60 :: v_dual_sub_f32 v67, v3, v14
	v_fma_f32 v21, v23, v89, -v68
	v_fma_f32 v22, v22, v95, -v66
	v_dual_add_f32 v66, v14, v0 :: v_dual_sub_f32 v71, v0, v1
	v_dual_sub_f32 v64, v56, v53 :: v_dual_sub_f32 v65, v59, v60
	v_dual_sub_f32 v40, v58, v57 :: v_dual_sub_f32 v23, v49, v24
	v_sub_f32_e32 v68, v1, v0
	v_dual_sub_f32 v70, v14, v3 :: v_dual_sub_f32 v81, v28, v32
	v_dual_add_f32 v72, v33, v58 :: v_dual_sub_f32 v75, v20, v39
	v_fma_f32 v73, -0.5, v35, v63
	v_dual_add_f32 v74, v36, v37 :: v_dual_add_f32 v37, v10, v30
	v_dual_fmac_f32 v63, -0.5, v38 :: v_dual_add_f32 v38, v25, v28
	v_sub_f32_e32 v77, v30, v25
	v_dual_sub_f32 v76, v27, v29 :: v_dual_add_f32 v79, v30, v32
	v_dual_sub_f32 v78, v32, v28 :: v_dual_add_f32 v83, v17, v19
	;; [unrolled: 1-line block ×3, first 2 shown]
	v_dual_add_f32 v82, v11, v21 :: v_dual_sub_f32 v87, v22, v19
	v_add_f32_e32 v88, v21, v22
	v_fma_f32 v33, -0.5, v66, v2
	v_fma_f32 v36, -0.5, v69, v2
	v_dual_sub_f32 v80, v25, v30 :: v_dual_sub_f32 v85, v18, v9
	v_dual_sub_f32 v84, v16, v15 :: v_dual_sub_f32 v89, v17, v21
	v_dual_sub_f32 v86, v21, v17 :: v_dual_add_f32 v35, v70, v71
	v_sub_f32_e32 v90, v19, v22
	v_dual_add_f32 v40, v67, v68 :: v_dual_add_f32 v69, v37, v25
	v_add_f32_e32 v66, v72, v59
	v_fmamk_f32 v67, v48, 0x3f737871, v73
	v_fmac_f32_e32 v73, 0xbf737871, v48
	v_dual_fmamk_f32 v68, v64, 0xbf737871, v63 :: v_dual_add_f32 v71, v77, v78
	v_fmac_f32_e32 v63, 0x3f737871, v64
	v_fma_f32 v70, -0.5, v38, v10
	v_fma_f32 v10, -0.5, v79, v10
	;; [unrolled: 1-line block ×3, first 2 shown]
	v_add_f32_e32 v77, v82, v17
	v_dual_fmac_f32 v11, -0.5, v88 :: v_dual_fmamk_f32 v38, v26, 0xbf737871, v36
	v_dual_fmamk_f32 v37, v23, 0x3f737871, v33 :: v_dual_add_f32 v66, v66, v60
	v_dual_add_f32 v72, v80, v81 :: v_dual_add_f32 v79, v86, v87
	v_dual_add_f32 v80, v89, v90 :: v_dual_fmac_f32 v67, 0x3f167918, v64
	s_delay_alu instid0(VALU_DEP_4)
	v_fmac_f32_e32 v38, 0x3f167918, v23
	v_dual_fmac_f32 v68, 0x3f167918, v48 :: v_dual_add_f32 v77, v77, v19
	v_fmamk_f32 v81, v84, 0x3f737871, v78
	v_fmac_f32_e32 v78, 0xbf737871, v84
	v_fmac_f32_e32 v63, 0xbf167918, v48
	v_dual_add_f32 v48, v69, v28 :: v_dual_fmamk_f32 v69, v76, 0xbf737871, v10
	v_fmac_f32_e32 v10, 0x3f737871, v76
	v_fmac_f32_e32 v73, 0xbf167918, v64
	v_fmamk_f32 v64, v75, 0x3f737871, v70
	v_fmac_f32_e32 v70, 0xbf737871, v75
	v_fmamk_f32 v82, v85, 0xbf737871, v11
	v_fmac_f32_e32 v11, 0x3f737871, v85
	v_dual_fmac_f32 v37, 0x3f167918, v26 :: v_dual_add_f32 v48, v48, v32
	v_dual_fmac_f32 v64, 0x3f167918, v76 :: v_dual_fmac_f32 v69, 0x3f167918, v75
	v_fmac_f32_e32 v10, 0xbf167918, v75
	v_dual_fmac_f32 v67, 0x3e9e377a, v74 :: v_dual_fmac_f32 v68, 0x3e9e377a, v65
	v_dual_fmac_f32 v73, 0x3e9e377a, v74 :: v_dual_fmac_f32 v38, 0x3e9e377a, v35
	;; [unrolled: 1-line block ×3, first 2 shown]
	v_fmac_f32_e32 v78, 0xbf167918, v85
	v_dual_fmac_f32 v63, 0x3e9e377a, v65 :: v_dual_fmac_f32 v64, 0x3e9e377a, v71
	v_dual_add_f32 v65, v77, v22 :: v_dual_fmac_f32 v70, 0xbf167918, v76
	v_fmac_f32_e32 v11, 0xbf167918, v84
	v_fmac_f32_e32 v37, 0x3e9e377a, v40
	v_dual_fmac_f32 v69, 0x3e9e377a, v72 :: v_dual_fmac_f32 v78, 0x3e9e377a, v79
	v_dual_fmac_f32 v10, 0x3e9e377a, v72 :: v_dual_fmac_f32 v81, 0x3e9e377a, v79
	v_fmac_f32_e32 v70, 0x3e9e377a, v71
	v_fmac_f32_e32 v82, 0x3e9e377a, v80
	;; [unrolled: 1-line block ×3, first 2 shown]
	ds_store_2addr_b32 v50, v66, v67 offset1:5
	ds_store_2addr_b32 v50, v68, v63 offset0:10 offset1:15
	ds_store_b32 v50, v73 offset:80
	ds_store_2addr_b32 v52, v48, v64 offset1:5
	ds_store_2addr_b32 v52, v69, v10 offset0:10 offset1:15
	ds_store_b32 v52, v70 offset:80
	;; [unrolled: 3-line block ×3, first 2 shown]
	s_and_saveexec_b32 s1, s0
	s_cbranch_execz .LBB0_22
; %bb.21:
	v_mul_lo_u16 v10, 0xcd, v47
	v_mul_f32_e32 v11, 0x3f737871, v23
	v_dual_mul_f32 v48, 0x3f167918, v26 :: v_dual_mul_f32 v23, 0x3f167918, v23
	v_mul_f32_e32 v26, 0x3f737871, v26
	s_delay_alu instid0(VALU_DEP_4) | instskip(NEXT) | instid1(VALU_DEP_4)
	v_lshrrev_b16 v10, 10, v10
	v_dual_mul_f32 v40, 0x3e9e377a, v40 :: v_dual_sub_f32 v11, v33, v11
	v_add_f32_e32 v2, v2, v3
	s_delay_alu instid0(VALU_DEP_4) | instskip(NEXT) | instid1(VALU_DEP_3)
	v_dual_mul_f32 v33, 0x3e9e377a, v35 :: v_dual_add_f32 v26, v26, v36
	v_dual_sub_f32 v11, v11, v48 :: v_dual_and_b32 v10, 0xffff, v10
	s_delay_alu instid0(VALU_DEP_3) | instskip(NEXT) | instid1(VALU_DEP_3)
	v_add_f32_e32 v2, v2, v14
	v_sub_f32_e32 v23, v26, v23
	s_delay_alu instid0(VALU_DEP_3) | instskip(NEXT) | instid1(VALU_DEP_3)
	v_mad_u32_u24 v10, 0x64, v10, 0
	v_dual_add_f32 v11, v40, v11 :: v_dual_add_f32 v2, v2, v0
	s_delay_alu instid0(VALU_DEP_3) | instskip(NEXT) | instid1(VALU_DEP_3)
	v_add_f32_e32 v23, v33, v23
	v_add3_u32 v10, v10, v46, v62
	s_delay_alu instid0(VALU_DEP_3)
	v_add_f32_e32 v2, v2, v1
	ds_store_2addr_b32 v10, v2, v37 offset1:5
	ds_store_2addr_b32 v10, v38, v23 offset0:10 offset1:15
	ds_store_b32 v10, v11 offset:80
.LBB0_22:
	s_wait_alu 0xfffe
	s_or_b32 exec_lo, exec_lo, s1
	v_dual_add_f32 v2, v56, v53 :: v_dual_sub_f32 v11, v57, v60
	v_dual_add_f32 v10, v45, v55 :: v_dual_add_f32 v33, v55, v54
	v_dual_sub_f32 v23, v58, v59 :: v_dual_sub_f32 v26, v55, v56
	s_delay_alu instid0(VALU_DEP_3) | instskip(SKIP_1) | instid1(VALU_DEP_4)
	v_fma_f32 v36, -0.5, v2, v45
	v_dual_sub_f32 v2, v54, v53 :: v_dual_sub_f32 v35, v56, v55
	v_dual_add_f32 v10, v10, v56 :: v_dual_fmac_f32 v45, -0.5, v33
	s_delay_alu instid0(VALU_DEP_3) | instskip(SKIP_1) | instid1(VALU_DEP_4)
	v_fmamk_f32 v48, v11, 0xbf737871, v36
	v_dual_fmac_f32 v36, 0x3f737871, v11 :: v_dual_add_f32 v33, v27, v29
	v_add_f32_e32 v2, v26, v2
	s_delay_alu instid0(VALU_DEP_4) | instskip(SKIP_1) | instid1(VALU_DEP_4)
	v_add_f32_e32 v10, v10, v53
	v_dual_sub_f32 v26, v53, v54 :: v_dual_fmamk_f32 v53, v23, 0x3f737871, v45
	v_fmac_f32_e32 v36, 0x3f167918, v23
	v_fmac_f32_e32 v45, 0xbf737871, v23
	v_dual_fmac_f32 v48, 0xbf167918, v23 :: v_dual_sub_f32 v23, v30, v32
	v_fma_f32 v55, -0.5, v33, v12
	v_dual_fmac_f32 v53, 0xbf167918, v11 :: v_dual_add_f32 v54, v10, v54
	s_delay_alu instid0(VALU_DEP_4) | instskip(SKIP_1) | instid1(VALU_DEP_4)
	v_fmac_f32_e32 v45, 0x3f167918, v11
	v_dual_sub_f32 v11, v25, v28 :: v_dual_add_f32 v26, v35, v26
	v_fmamk_f32 v56, v23, 0xbf737871, v55
	v_dual_fmac_f32 v55, 0x3f737871, v23 :: v_dual_add_f32 v10, v12, v20
	v_dual_fmac_f32 v48, 0x3e9e377a, v2 :: v_dual_sub_f32 v25, v20, v27
	s_delay_alu instid0(VALU_DEP_4) | instskip(SKIP_1) | instid1(VALU_DEP_4)
	v_fmac_f32_e32 v53, 0x3e9e377a, v26
	v_fmac_f32_e32 v36, 0x3e9e377a, v2
	v_dual_add_f32 v10, v10, v27 :: v_dual_fmac_f32 v45, 0x3e9e377a, v26
	v_dual_sub_f32 v28, v39, v29 :: v_dual_fmac_f32 v55, 0x3f167918, v11
	v_sub_f32_e32 v68, v34, v24
	s_delay_alu instid0(VALU_DEP_3)
	v_add_f32_e32 v2, v10, v29
	v_dual_add_f32 v10, v20, v39 :: v_dual_add_nc_u32 v33, 0xe00, v5
	global_wb scope:SCOPE_SE
	s_wait_dscnt 0x0
	s_barrier_signal -1
	s_barrier_wait -1
	v_fma_f32 v57, -0.5, v10, v12
	v_dual_sub_f32 v12, v29, v39 :: v_dual_add_nc_u32 v29, 0xc00, v5
	global_inv scope:SCOPE_SE
	v_sub_f32_e32 v1, v3, v1
	v_fmamk_f32 v59, v11, 0x3f737871, v57
	v_dual_sub_f32 v10, v27, v20 :: v_dual_fmac_f32 v57, 0xbf737871, v11
	v_add_f32_e32 v20, v18, v9
	v_sub_f32_e32 v3, v14, v0
	s_delay_alu instid0(VALU_DEP_3)
	v_dual_fmac_f32 v59, 0xbf167918, v23 :: v_dual_add_f32 v10, v10, v12
	v_add_f32_e32 v58, v2, v39
	v_dual_add_f32 v2, v25, v28 :: v_dual_fmac_f32 v57, 0x3f167918, v23
	v_fma_f32 v60, -0.5, v20, v13
	v_sub_f32_e32 v20, v21, v22
	v_add_nc_u32_e32 v28, 0x400, v5
	s_delay_alu instid0(VALU_DEP_4)
	v_fmac_f32_e32 v55, 0x3e9e377a, v2
	v_add_nc_u32_e32 v27, 0x800, v5
	ds_load_2addr_b32 v[22:23], v5 offset0:75 offset1:150
	v_fmamk_f32 v63, v20, 0xbf737871, v60
	v_fmac_f32_e32 v56, 0xbf167918, v11
	v_sub_f32_e32 v11, v17, v19
	v_sub_f32_e32 v19, v15, v9
	v_dual_sub_f32 v17, v16, v18 :: v_dual_add_f32 v12, v13, v16
	s_delay_alu instid0(VALU_DEP_4) | instskip(NEXT) | instid1(VALU_DEP_4)
	v_fmac_f32_e32 v56, 0x3e9e377a, v2
	v_fmac_f32_e32 v63, 0xbf167918, v11
	s_delay_alu instid0(VALU_DEP_3) | instskip(SKIP_3) | instid1(VALU_DEP_4)
	v_dual_fmac_f32 v59, 0x3e9e377a, v10 :: v_dual_add_f32 v64, v17, v19
	v_fmac_f32_e32 v57, 0x3e9e377a, v10
	v_sub_f32_e32 v35, v31, v49
	v_add_nc_u32_e32 v26, 0x200, v5
	v_dual_fmac_f32 v63, 0x3e9e377a, v64 :: v_dual_add_f32 v2, v12, v18
	v_add_f32_e32 v12, v16, v15
	v_fmac_f32_e32 v60, 0x3f737871, v20
	v_add_f32_e32 v35, v35, v68
	s_delay_alu instid0(VALU_DEP_3) | instskip(NEXT) | instid1(VALU_DEP_1)
	v_fmac_f32_e32 v13, -0.5, v12
	v_dual_add_f32 v12, v49, v24 :: v_dual_fmamk_f32 v65, v11, 0x3f737871, v13
	v_fmac_f32_e32 v13, 0xbf737871, v11
	s_delay_alu instid0(VALU_DEP_2) | instskip(NEXT) | instid1(VALU_DEP_3)
	v_fma_f32 v0, -0.5, v12, v8
	v_dual_sub_f32 v12, v24, v34 :: v_dual_fmac_f32 v65, 0xbf167918, v20
	s_delay_alu instid0(VALU_DEP_3) | instskip(NEXT) | instid1(VALU_DEP_3)
	v_dual_fmac_f32 v13, 0x3f167918, v20 :: v_dual_add_f32 v2, v2, v9
	v_dual_sub_f32 v9, v9, v15 :: v_dual_fmamk_f32 v40, v3, 0x3f737871, v0
	ds_load_2addr_b32 v[20:21], v26 offset0:97 offset1:172
	v_add_f32_e32 v66, v2, v15
	v_add_f32_e32 v2, v31, v34
	v_fmac_f32_e32 v40, 0xbf167918, v1
	s_delay_alu instid0(VALU_DEP_2) | instskip(NEXT) | instid1(VALU_DEP_2)
	v_fma_f32 v2, -0.5, v2, v8
	v_fmac_f32_e32 v40, 0x3e9e377a, v35
	s_delay_alu instid0(VALU_DEP_2) | instskip(NEXT) | instid1(VALU_DEP_1)
	v_dual_fmamk_f32 v39, v1, 0xbf737871, v2 :: v_dual_sub_f32 v10, v18, v16
	v_fmac_f32_e32 v39, 0xbf167918, v3
	s_delay_alu instid0(VALU_DEP_2) | instskip(NEXT) | instid1(VALU_DEP_1)
	v_dual_fmac_f32 v60, 0x3f167918, v11 :: v_dual_add_f32 v67, v10, v9
	v_dual_sub_f32 v11, v49, v31 :: v_dual_fmac_f32 v60, 0x3e9e377a, v64
	s_delay_alu instid0(VALU_DEP_2) | instskip(NEXT) | instid1(VALU_DEP_2)
	v_fmac_f32_e32 v65, 0x3e9e377a, v67
	v_add_f32_e32 v25, v11, v12
	ds_load_2addr_b32 v[18:19], v28 offset0:119 offset1:194
	ds_load_2addr_b32 v[9:10], v27 offset0:13 offset1:88
	ds_load_2addr_b32 v[16:17], v27 offset0:163 offset1:238
	ds_load_2addr_b32 v[14:15], v29 offset0:57 offset1:132
	ds_load_2addr_b32 v[11:12], v33 offset0:79 offset1:154
	ds_load_b32 v30, v61
	ds_load_b32 v32, v5 offset:4500
	v_fmac_f32_e32 v13, 0x3e9e377a, v67
	global_wb scope:SCOPE_SE
	s_wait_dscnt 0x0
	s_barrier_signal -1
	v_fmac_f32_e32 v39, 0x3e9e377a, v25
	s_barrier_wait -1
	global_inv scope:SCOPE_SE
	ds_store_2addr_b32 v50, v54, v48 offset1:5
	ds_store_2addr_b32 v50, v53, v45 offset0:10 offset1:15
	ds_store_b32 v50, v36 offset:80
	ds_store_2addr_b32 v52, v58, v56 offset1:5
	ds_store_2addr_b32 v52, v59, v57 offset0:10 offset1:15
	ds_store_b32 v52, v55 offset:80
	;; [unrolled: 3-line block ×3, first 2 shown]
	s_and_saveexec_b32 s1, s0
	s_cbranch_execz .LBB0_24
; %bb.23:
	v_mul_lo_u16 v13, 0xcd, v47
	v_dual_mul_f32 v45, 0x3f167918, v3 :: v_dual_add_f32 v8, v8, v49
	v_dual_mul_f32 v36, 0x3f737871, v1 :: v_dual_mul_f32 v3, 0x3f737871, v3
	s_delay_alu instid0(VALU_DEP_3) | instskip(NEXT) | instid1(VALU_DEP_3)
	v_lshrrev_b16 v13, 10, v13
	v_dual_mul_f32 v25, 0x3e9e377a, v25 :: v_dual_add_f32 v8, v8, v31
	s_delay_alu instid0(VALU_DEP_3) | instskip(NEXT) | instid1(VALU_DEP_3)
	v_dual_mul_f32 v1, 0x3f167918, v1 :: v_dual_sub_f32 v0, v0, v3
	v_dual_add_f32 v2, v2, v36 :: v_dual_and_b32 v13, 0xffff, v13
	s_delay_alu instid0(VALU_DEP_3) | instskip(NEXT) | instid1(VALU_DEP_3)
	v_dual_mul_f32 v3, 0x3e9e377a, v35 :: v_dual_add_f32 v8, v8, v34
	v_add_f32_e32 v0, v1, v0
	s_delay_alu instid0(VALU_DEP_3) | instskip(NEXT) | instid1(VALU_DEP_3)
	v_mad_u32_u24 v13, 0x64, v13, 0
	v_dual_add_f32 v1, v45, v2 :: v_dual_add_f32 v2, v8, v24
	s_delay_alu instid0(VALU_DEP_3) | instskip(NEXT) | instid1(VALU_DEP_3)
	v_add_f32_e32 v0, v3, v0
	v_add3_u32 v8, v13, v46, v62
	s_delay_alu instid0(VALU_DEP_3)
	v_add_f32_e32 v1, v25, v1
	ds_store_2addr_b32 v8, v2, v39 offset1:5
	ds_store_2addr_b32 v8, v40, v0 offset0:10 offset1:15
	ds_store_b32 v8, v1 offset:80
.LBB0_24:
	s_wait_alu 0xfffe
	s_or_b32 exec_lo, exec_lo, s1
	v_mul_lo_u16 v0, v44, 41
	global_wb scope:SCOPE_SE
	s_wait_dscnt 0x0
	s_barrier_signal -1
	s_barrier_wait -1
	global_inv scope:SCOPE_SE
	v_lshrrev_b16 v8, 10, v0
	v_cmp_gt_u32_e64 s0, 25, v4
	s_delay_alu instid0(VALU_DEP_2) | instskip(NEXT) | instid1(VALU_DEP_1)
	v_mul_lo_u16 v0, v8, 25
	v_sub_nc_u16 v0, v4, v0
	s_delay_alu instid0(VALU_DEP_1) | instskip(NEXT) | instid1(VALU_DEP_1)
	v_and_b32_e32 v13, 0xff, v0
	v_mul_u32_u24_e32 v0, 15, v13
	s_delay_alu instid0(VALU_DEP_1)
	v_lshlrev_b32_e32 v24, 3, v0
	s_clause 0x7
	global_load_b128 v[44:47], v24, s[4:5] offset:160
	global_load_b128 v[48:51], v24, s[4:5] offset:176
	;; [unrolled: 1-line block ×7, first 2 shown]
	global_load_b64 v[71:72], v24, s[4:5] offset:272
	ds_load_2addr_b32 v[73:74], v5 offset0:75 offset1:150
	ds_load_2addr_b32 v[75:76], v26 offset0:97 offset1:172
	;; [unrolled: 1-line block ×7, first 2 shown]
	v_and_b32_e32 v8, 0xffff, v8
	v_lshlrev_b32_e32 v13, 2, v13
	ds_load_b32 v34, v61
	ds_load_b32 v60, v5 offset:4500
	v_add_nc_u32_e32 v31, 0xa00, v5
	v_add_nc_u32_e32 v35, 0x1000, v5
	global_wb scope:SCOPE_SE
	s_wait_loadcnt_dscnt 0x0
	s_barrier_signal -1
	s_barrier_wait -1
	global_inv scope:SCOPE_SE
	v_mul_f32_e32 v85, v74, v47
	v_mad_u32_u24 v8, 0x640, v8, 0
	v_mul_f32_e32 v36, v21, v51
	v_mul_f32_e32 v90, v25, v3
	;; [unrolled: 1-line block ×4, first 2 shown]
	v_add3_u32 v33, v8, v13, v62
	v_mul_f32_e32 v62, v73, v45
	v_mul_f32_e32 v45, v22, v45
	;; [unrolled: 1-line block ×3, first 2 shown]
	s_delay_alu instid0(VALU_DEP_4) | instskip(NEXT) | instid1(VALU_DEP_4)
	v_dual_mul_f32 v47, v23, v47 :: v_dual_add_nc_u32 v8, 0x200, v33
	v_fma_f32 v22, v22, v44, -v62
	s_delay_alu instid0(VALU_DEP_4)
	v_fmac_f32_e32 v45, v73, v44
	v_mul_f32_e32 v44, v81, v64
	v_mul_f32_e32 v51, v77, v53
	;; [unrolled: 1-line block ×7, first 2 shown]
	v_dual_mul_f32 v91, v79, v57 :: v_dual_fmac_f32 v36, v76, v50
	v_fma_f32 v23, v23, v46, -v85
	v_fmac_f32_e32 v47, v74, v46
	v_dual_mul_f32 v46, v14, v64 :: v_dual_mul_f32 v57, v16, v57
	v_mul_f32_e32 v64, v82, v66
	v_mul_f32_e32 v66, v15, v66
	v_fma_f32 v20, v20, v48, -v86
	s_delay_alu instid0(VALU_DEP_4)
	v_fmac_f32_e32 v46, v81, v63
	v_fma_f32 v14, v14, v63, -v44
	v_dual_mul_f32 v62, v80, v59 :: v_dual_add_nc_u32 v13, 0x400, v33
	v_fma_f32 v21, v21, v50, -v49
	v_mul_f32_e32 v49, v84, v70
	v_dual_mul_f32 v70, v12, v70 :: v_dual_mul_f32 v73, v83, v68
	v_dual_mul_f32 v68, v11, v68 :: v_dual_mul_f32 v59, v17, v59
	v_mul_f32_e32 v50, v32, v72
	v_fmac_f32_e32 v87, v75, v48
	v_mul_f32_e32 v48, v60, v72
	v_fma_f32 v9, v9, v0, -v89
	v_dual_fmac_f32 v57, v79, v56 :: v_dual_sub_f32 v14, v20, v14
	v_fma_f32 v15, v15, v65, -v64
	v_dual_fmac_f32 v66, v82, v65 :: v_dual_fmac_f32 v1, v24, v0
	v_fma_f32 v0, v10, v2, -v90
	v_fma_f32 v19, v19, v54, -v88
	v_fmac_f32_e32 v55, v78, v54
	v_fma_f32 v17, v17, v58, -v62
	v_fmac_f32_e32 v68, v83, v67
	;; [unrolled: 2-line block ×3, first 2 shown]
	v_fma_f32 v18, v18, v52, -v51
	v_fma_f32 v16, v16, v56, -v91
	v_dual_fmac_f32 v59, v80, v58 :: v_dual_sub_f32 v0, v30, v0
	v_fma_f32 v11, v11, v67, -v73
	v_fma_f32 v24, v32, v71, -v48
	v_fmac_f32_e32 v50, v60, v71
	v_sub_f32_e32 v32, v21, v15
	v_dual_fmac_f32 v53, v77, v52 :: v_dual_sub_f32 v44, v55, v70
	v_dual_sub_f32 v49, v36, v66 :: v_dual_sub_f32 v12, v19, v12
	v_dual_sub_f32 v15, v23, v17 :: v_dual_sub_f32 v16, v22, v16
	;; [unrolled: 1-line block ×4, first 2 shown]
	v_sub_f32_e32 v46, v87, v46
	v_dual_sub_f32 v50, v1, v50 :: v_dual_sub_f32 v57, v0, v49
	v_sub_f32_e32 v51, v53, v68
	v_fma_f32 v56, v23, 2.0, -v15
	v_fma_f32 v19, v19, 2.0, -v12
	v_sub_f32_e32 v59, v15, v44
	v_fma_f32 v54, v30, 2.0, -v0
	v_fma_f32 v21, v21, 2.0, -v32
	;; [unrolled: 1-line block ×8, first 2 shown]
	v_dual_add_f32 v60, v17, v12 :: v_dual_add_f32 v11, v48, v11
	v_sub_f32_e32 v44, v14, v50
	v_sub_f32_e32 v12, v16, v51
	v_fma_f32 v45, v45, 2.0, -v48
	v_fma_f32 v30, v53, 2.0, -v51
	;; [unrolled: 1-line block ×4, first 2 shown]
	v_dual_add_f32 v50, v46, v24 :: v_dual_sub_f32 v1, v56, v19
	v_fma_f32 v51, v0, 2.0, -v57
	v_fma_f32 v58, v15, 2.0, -v59
	v_sub_f32_e32 v21, v54, v21
	v_dual_sub_f32 v53, v52, v23 :: v_dual_sub_f32 v0, v22, v18
	v_fma_f32 v16, v16, 2.0, -v12
	v_sub_f32_e32 v18, v47, v55
	v_fma_f32 v14, v14, 2.0, -v44
	s_delay_alu instid0(VALU_DEP_4)
	v_dual_fmamk_f32 v63, v59, 0x3f3504f3, v57 :: v_dual_sub_f32 v64, v21, v53
	v_fma_f32 v62, v17, 2.0, -v60
	v_dual_sub_f32 v15, v45, v30 :: v_dual_fmamk_f32 v30, v50, 0x3f3504f3, v11
	v_fma_f32 v17, v48, 2.0, -v11
	v_sub_f32_e32 v9, v20, v9
	v_fma_f32 v19, v46, 2.0, -v50
	v_fma_f32 v46, v56, 2.0, -v1
	v_fmamk_f32 v56, v58, 0xbf3504f3, v51
	s_delay_alu instid0(VALU_DEP_4)
	v_dual_fmamk_f32 v23, v44, 0x3f3504f3, v12 :: v_dual_add_f32 v66, v15, v9
	v_fma_f32 v48, v54, 2.0, -v21
	v_dual_fmac_f32 v63, 0xbf3504f3, v60 :: v_dual_fmamk_f32 v24, v14, 0xbf3504f3, v16
	v_fma_f32 v22, v22, 2.0, -v0
	v_fma_f32 v54, v45, 2.0, -v15
	;; [unrolled: 1-line block ×3, first 2 shown]
	v_dual_fmamk_f32 v45, v19, 0xbf3504f3, v17 :: v_dual_fmac_f32 v56, 0xbf3504f3, v62
	v_dual_sub_f32 v65, v0, v18 :: v_dual_fmac_f32 v30, 0x3f3504f3, v44
	v_dual_fmac_f32 v23, 0xbf3504f3, v50 :: v_dual_fmac_f32 v24, 0xbf3504f3, v19
	v_fma_f32 v55, v47, 2.0, -v18
	v_sub_f32_e32 v9, v48, v46
	v_fma_f32 v18, v21, 2.0, -v64
	v_fma_f32 v21, v57, 2.0, -v63
	;; [unrolled: 1-line block ×3, first 2 shown]
	v_dual_fmamk_f32 v0, v23, 0x3f6c835e, v63 :: v_dual_sub_f32 v47, v22, v20
	v_fmac_f32_e32 v45, 0x3f3504f3, v14
	v_fma_f32 v46, v12, 2.0, -v23
	v_dual_sub_f32 v55, v54, v55 :: v_dual_fmamk_f32 v20, v24, 0x3ec3ef15, v56
	v_fma_f32 v50, v11, 2.0, -v30
	v_fmamk_f32 v11, v65, 0x3f3504f3, v64
	v_fma_f32 v12, v48, 2.0, -v9
	v_fma_f32 v14, v51, 2.0, -v56
	;; [unrolled: 1-line block ×5, first 2 shown]
	v_fmamk_f32 v16, v67, 0xbf3504f3, v18
	v_fma_f32 v15, v22, 2.0, -v47
	v_dual_fmamk_f32 v17, v46, 0xbec3ef15, v21 :: v_dual_fmac_f32 v0, 0xbec3ef15, v30
	v_dual_sub_f32 v19, v9, v55 :: v_dual_fmamk_f32 v22, v48, 0xbf6c835e, v14
	s_delay_alu instid0(VALU_DEP_4) | instskip(NEXT) | instid1(VALU_DEP_4)
	v_dual_fmac_f32 v11, 0xbf3504f3, v66 :: v_dual_fmac_f32 v16, 0xbf3504f3, v68
	v_dual_sub_f32 v15, v12, v15 :: v_dual_fmac_f32 v20, 0xbf6c835e, v45
	s_delay_alu instid0(VALU_DEP_4) | instskip(NEXT) | instid1(VALU_DEP_3)
	v_fmac_f32_e32 v17, 0xbf6c835e, v50
	v_fma_f32 v44, v64, 2.0, -v11
	v_fma_f32 v57, v63, 2.0, -v0
	v_fmac_f32_e32 v22, 0xbec3ef15, v51
	ds_store_2addr_b32 v13, v11, v0 offset0:94 offset1:119
	v_fma_f32 v11, v12, 2.0, -v15
	v_fma_f32 v12, v18, 2.0, -v16
	v_fma_f32 v18, v21, 2.0, -v17
	v_fma_f32 v9, v9, 2.0, -v19
	v_fma_f32 v21, v56, 2.0, -v20
	ds_store_2addr_b32 v33, v44, v57 offset0:150 offset1:175
	ds_store_2addr_b32 v8, v16, v17 offset0:122 offset1:147
	v_fma_f32 v8, v14, 2.0, -v22
	ds_store_2addr_b32 v13, v19, v20 offset0:44 offset1:69
	ds_store_2addr_b32 v33, v12, v18 offset0:50 offset1:75
	;; [unrolled: 1-line block ×4, first 2 shown]
	ds_store_2addr_b32 v33, v11, v8 offset1:25
	global_wb scope:SCOPE_SE
	s_wait_dscnt 0x0
	s_barrier_signal -1
	s_barrier_wait -1
	global_inv scope:SCOPE_SE
	ds_load_b32 v44, v61
	ds_load_2addr_b32 v[11:12], v28 offset0:144 offset1:219
	ds_load_2addr_b32 v[13:14], v31 offset0:60 offset1:160
	ds_load_2addr_b32 v[8:9], v5 offset0:75 offset1:150
	ds_load_2addr_b32 v[15:16], v29 offset0:107 offset1:182
	ds_load_2addr_b32 v[19:20], v27 offset0:38 offset1:113
	ds_load_2addr_b32 v[17:18], v26 offset0:97 offset1:172
	ds_load_2addr_b32 v[21:22], v35 offset0:1 offset1:76
	v_dual_mul_f32 v29, 0x3f3504f3, v58 :: v_dual_mul_f32 v28, 0x3f3504f3, v68
	v_dual_mul_f32 v58, 0x3f3504f3, v62 :: v_dual_mul_f32 v57, 0x3f3504f3, v59
	;; [unrolled: 1-line block ×4, first 2 shown]
	s_and_saveexec_b32 s1, s0
	s_cbranch_execz .LBB0_26
; %bb.25:
	ds_load_b32 v0, v5 offset:1500
	ds_load_b32 v37, v5 offset:3100
	;; [unrolled: 1-line block ×3, first 2 shown]
.LBB0_26:
	s_wait_alu 0xfffe
	s_or_b32 exec_lo, exec_lo, s1
	v_mul_f32_e32 v3, v10, v3
	v_fma_f32 v10, v52, 2.0, -v53
	global_wb scope:SCOPE_SE
	s_wait_dscnt 0x0
	s_barrier_signal -1
	s_barrier_wait -1
	v_fmac_f32_e32 v3, v25, v2
	v_fma_f32 v25, v54, 2.0, -v55
	global_inv scope:SCOPE_SE
	v_add_nc_u32_e32 v54, 0x400, v33
	v_sub_f32_e32 v2, v34, v3
	v_fma_f32 v3, v36, 2.0, -v49
	v_add_nc_u32_e32 v49, 0x200, v33
	s_delay_alu instid0(VALU_DEP_3) | instskip(SKIP_1) | instid1(VALU_DEP_2)
	v_fma_f32 v34, v34, 2.0, -v2
	v_add_f32_e32 v32, v2, v32
	v_sub_f32_e32 v3, v34, v3
	s_delay_alu instid0(VALU_DEP_2) | instskip(NEXT) | instid1(VALU_DEP_2)
	v_fma_f32 v2, v2, 2.0, -v32
	v_dual_add_f32 v36, v32, v59 :: v_dual_add_f32 v53, v3, v1
	v_fma_f32 v34, v34, 2.0, -v3
	s_delay_alu instid0(VALU_DEP_3) | instskip(NEXT) | instid1(VALU_DEP_3)
	v_sub_f32_e32 v52, v2, v58
	v_add_f32_e32 v36, v57, v36
	s_delay_alu instid0(VALU_DEP_4) | instskip(NEXT) | instid1(VALU_DEP_3)
	v_fma_f32 v3, v3, 2.0, -v53
	v_dual_sub_f32 v10, v34, v10 :: v_dual_add_f32 v29, v29, v52
	s_delay_alu instid0(VALU_DEP_3) | instskip(SKIP_1) | instid1(VALU_DEP_3)
	v_fma_f32 v32, v32, 2.0, -v36
	v_dual_add_f32 v52, v53, v56 :: v_dual_fmamk_f32 v1, v30, 0x3f6c835e, v36
	v_fma_f32 v30, v34, 2.0, -v10
	s_delay_alu instid0(VALU_DEP_4) | instskip(SKIP_1) | instid1(VALU_DEP_4)
	v_fma_f32 v2, v2, 2.0, -v29
	v_dual_sub_f32 v28, v3, v28 :: v_dual_add_f32 v47, v10, v47
	v_dual_fmamk_f32 v34, v50, 0xbec3ef15, v32 :: v_dual_add_f32 v27, v27, v52
	v_fmamk_f32 v45, v45, 0x3ec3ef15, v29
	s_delay_alu instid0(VALU_DEP_3) | instskip(NEXT) | instid1(VALU_DEP_3)
	v_dual_fmac_f32 v1, 0x3ec3ef15, v23 :: v_dual_add_f32 v26, v26, v28
	v_dual_sub_f32 v23, v30, v25 :: v_dual_fmac_f32 v34, 0x3f6c835e, v46
	v_fmamk_f32 v25, v51, 0xbf6c835e, v2
	s_delay_alu instid0(VALU_DEP_4)
	v_fmac_f32_e32 v45, 0x3f6c835e, v24
	v_fma_f32 v24, v53, 2.0, -v27
	v_fma_f32 v28, v36, 2.0, -v1
	;; [unrolled: 1-line block ×3, first 2 shown]
	v_fmac_f32_e32 v25, 0x3ec3ef15, v48
	v_fma_f32 v32, v32, 2.0, -v34
	v_fma_f32 v10, v10, 2.0, -v47
	;; [unrolled: 1-line block ×5, first 2 shown]
	ds_store_2addr_b32 v33, v24, v28 offset0:150 offset1:175
	ds_store_2addr_b32 v49, v26, v34 offset0:122 offset1:147
	;; [unrolled: 1-line block ×6, first 2 shown]
	ds_store_2addr_b32 v33, v30, v2 offset1:25
	ds_store_2addr_b32 v54, v27, v1 offset0:94 offset1:119
	v_add_nc_u32_e32 v2, 0x400, v5
	global_wb scope:SCOPE_SE
	s_wait_dscnt 0x0
	s_barrier_signal -1
	s_barrier_wait -1
	global_inv scope:SCOPE_SE
	ds_load_b32 v10, v61
	ds_load_2addr_b32 v[23:24], v2 offset0:144 offset1:219
	v_add_nc_u32_e32 v2, 0xc00, v5
	v_add_nc_u32_e32 v3, 0x800, v5
	;; [unrolled: 1-line block ×3, first 2 shown]
	ds_load_2addr_b32 v[27:28], v31 offset0:60 offset1:160
	ds_load_2addr_b32 v[25:26], v5 offset0:75 offset1:150
	;; [unrolled: 1-line block ×6, first 2 shown]
	s_and_saveexec_b32 s1, s0
	s_cbranch_execz .LBB0_28
; %bb.27:
	ds_load_b32 v1, v5 offset:1500
	ds_load_b32 v39, v5 offset:3100
	;; [unrolled: 1-line block ×3, first 2 shown]
.LBB0_28:
	s_wait_alu 0xfffe
	s_or_b32 exec_lo, exec_lo, s1
	s_and_saveexec_b32 s1, vcc_lo
	s_cbranch_execz .LBB0_31
; %bb.29:
	v_add_nc_u32_e32 v65, 0x12c, v4
	s_delay_alu instid0(VALU_DEP_1) | instskip(NEXT) | instid1(VALU_DEP_1)
	v_dual_mov_b32 v3, 0 :: v_dual_lshlrev_b32 v2, 1, v65
	v_mov_b32_e32 v5, v3
	s_delay_alu instid0(VALU_DEP_2) | instskip(SKIP_2) | instid1(VALU_DEP_2)
	v_lshlrev_b64_e32 v[45:46], 3, v[2:3]
	v_lshlrev_b32_e32 v2, 1, v41
	v_mul_hi_u32 v41, 0x51eb851f, v41
	v_lshlrev_b64_e32 v[49:50], 3, v[2:3]
	s_delay_alu instid0(VALU_DEP_4) | instskip(SKIP_2) | instid1(VALU_DEP_4)
	v_add_co_u32 v45, vcc_lo, s4, v45
	s_wait_alu 0xfffd
	v_add_co_ci_u32_e32 v46, vcc_lo, s5, v46, vcc_lo
	v_lshrrev_b32_e32 v67, 7, v41
	s_delay_alu instid0(VALU_DEP_4)
	v_add_co_u32 v49, vcc_lo, s4, v49
	s_wait_alu 0xfffd
	v_add_co_ci_u32_e32 v50, vcc_lo, s5, v50, vcc_lo
	s_clause 0x1
	global_load_b128 v[45:48], v[45:46], off offset:3160
	global_load_b128 v[49:52], v[49:50], off offset:3160
	v_lshlrev_b32_e32 v2, 1, v42
	s_delay_alu instid0(VALU_DEP_1) | instskip(SKIP_2) | instid1(VALU_DEP_2)
	v_lshlrev_b64_e32 v[53:54], 3, v[2:3]
	v_lshlrev_b32_e32 v2, 1, v43
	v_mul_hi_u32 v43, 0x51eb851f, v65
	v_lshlrev_b64_e32 v[57:58], 3, v[2:3]
	v_lshlrev_b32_e32 v2, 1, v4
	v_add_co_u32 v53, vcc_lo, s4, v53
	s_wait_alu 0xfffd
	v_add_co_ci_u32_e32 v54, vcc_lo, s5, v54, vcc_lo
	s_delay_alu instid0(VALU_DEP_3)
	v_lshlrev_b64_e32 v[61:62], 3, v[2:3]
	v_add_co_u32 v57, vcc_lo, s4, v57
	global_load_b128 v[53:56], v[53:54], off offset:3160
	s_wait_alu 0xfffd
	v_add_co_ci_u32_e32 v58, vcc_lo, s5, v58, vcc_lo
	v_add_co_u32 v61, vcc_lo, s4, v61
	s_wait_alu 0xfffd
	v_add_co_ci_u32_e32 v62, vcc_lo, s5, v62, vcc_lo
	global_load_b128 v[57:60], v[57:58], off offset:3160
	v_mul_hi_u32 v2, 0x51eb851f, v42
	v_lshlrev_b64_e32 v[41:42], 3, v[4:5]
	global_load_b128 v[61:64], v[61:62], off offset:3160
	v_add_co_u32 v5, vcc_lo, s8, v6
	s_wait_alu 0xfffd
	v_add_co_ci_u32_e32 v6, vcc_lo, s9, v7, vcc_lo
	v_lshrrev_b32_e32 v7, 7, v43
	v_lshrrev_b32_e32 v2, 7, v2
	v_add_co_u32 v5, vcc_lo, v5, v41
	s_wait_alu 0xfffd
	v_add_co_ci_u32_e32 v6, vcc_lo, v6, v42, vcc_lo
	s_delay_alu instid0(VALU_DEP_3) | instskip(NEXT) | instid1(VALU_DEP_1)
	v_mul_u32_u24_e32 v2, 0x320, v2
	v_lshlrev_b64_e32 v[65:66], 3, v[2:3]
	v_mul_u32_u24_e32 v2, 0x320, v67
	s_delay_alu instid0(VALU_DEP_1) | instskip(SKIP_1) | instid1(VALU_DEP_4)
	v_lshlrev_b64_e32 v[41:42], 3, v[2:3]
	v_mul_u32_u24_e32 v2, 0x320, v7
	v_add_co_u32 v65, vcc_lo, v5, v65
	s_wait_alu 0xfffd
	v_add_co_ci_u32_e32 v66, vcc_lo, v6, v66, vcc_lo
	s_delay_alu instid0(VALU_DEP_3) | instskip(SKIP_3) | instid1(VALU_DEP_3)
	v_lshlrev_b64_e32 v[67:68], 3, v[2:3]
	v_add_co_u32 v41, vcc_lo, v5, v41
	s_wait_alu 0xfffd
	v_add_co_ci_u32_e32 v42, vcc_lo, v6, v42, vcc_lo
	v_add_co_u32 v67, vcc_lo, v5, v67
	s_wait_alu 0xfffd
	v_add_co_ci_u32_e32 v68, vcc_lo, v6, v68, vcc_lo
	s_wait_loadcnt_dscnt 0x400
	v_dual_mul_f32 v2, v27, v46 :: v_dual_mul_f32 v7, v36, v48
	v_dual_mul_f32 v43, v13, v46 :: v_dual_mul_f32 v46, v22, v48
	s_delay_alu instid0(VALU_DEP_2) | instskip(NEXT) | instid1(VALU_DEP_3)
	v_fma_f32 v2, v13, v45, -v2
	v_fma_f32 v7, v22, v47, -v7
	s_delay_alu instid0(VALU_DEP_3) | instskip(SKIP_4) | instid1(VALU_DEP_2)
	v_fmac_f32_e32 v43, v27, v45
	s_wait_loadcnt 0x3
	v_mul_f32_e32 v27, v20, v50
	v_dual_fmac_f32 v46, v36, v47 :: v_dual_mul_f32 v13, v34, v50
	v_dual_mul_f32 v22, v35, v52 :: v_dual_sub_f32 v45, v2, v7
	v_dual_mul_f32 v36, v21, v52 :: v_dual_add_f32 v47, v43, v46
	v_add_f32_e32 v48, v2, v7
	v_dual_sub_f32 v50, v43, v46 :: v_dual_add_f32 v43, v32, v43
	v_fma_f32 v13, v20, v49, -v13
	v_fma_f32 v22, v21, v51, -v22
	v_dual_fmac_f32 v27, v34, v49 :: v_dual_fmac_f32 v36, v35, v51
	v_add_f32_e32 v2, v18, v2
	v_fma_f32 v21, -0.5, v47, v32
	s_wait_loadcnt 0x2
	v_mul_f32_e32 v49, v33, v54
	v_dual_mul_f32 v51, v30, v56 :: v_dual_mul_f32 v52, v19, v54
	v_dual_mul_f32 v54, v16, v56 :: v_dual_add_f32 v35, v43, v46
	v_fma_f32 v20, -0.5, v48, v18
	v_dual_add_f32 v34, v2, v7 :: v_dual_sub_f32 v43, v27, v36
	v_dual_sub_f32 v2, v13, v22 :: v_dual_add_f32 v7, v27, v36
	v_dual_add_f32 v27, v31, v27 :: v_dual_add_f32 v32, v13, v22
	v_dual_add_f32 v13, v17, v13 :: v_dual_fmac_f32 v54, v30, v55
	v_fma_f32 v46, v19, v53, -v49
	v_fma_f32 v47, v16, v55, -v51
	s_wait_loadcnt 0x1
	v_dual_fmac_f32 v52, v33, v53 :: v_dual_mul_f32 v33, v24, v58
	v_dual_mul_f32 v48, v29, v60 :: v_dual_mul_f32 v49, v12, v58
	v_mul_f32_e32 v51, v15, v60
	v_fmamk_f32 v19, v45, 0x3f5db3d7, v21
	v_dual_fmamk_f32 v18, v50, 0xbf5db3d7, v20 :: v_dual_fmac_f32 v21, 0xbf5db3d7, v45
	v_fmac_f32_e32 v20, 0x3f5db3d7, v50
	v_fma_f32 v31, -0.5, v7, v31
	v_fma_f32 v30, -0.5, v32, v17
	v_dual_add_f32 v17, v27, v36 :: v_dual_add_f32 v16, v13, v22
	v_dual_sub_f32 v7, v46, v47 :: v_dual_add_f32 v22, v52, v54
	v_dual_add_f32 v32, v46, v47 :: v_dual_fmac_f32 v49, v24, v57
	v_dual_sub_f32 v36, v52, v54 :: v_dual_add_f32 v45, v26, v52
	v_dual_add_f32 v46, v9, v46 :: v_dual_fmamk_f32 v13, v2, 0x3f5db3d7, v31
	v_fma_f32 v50, v12, v57, -v33
	v_fma_f32 v48, v15, v59, -v48
	s_wait_loadcnt 0x0
	v_dual_fmac_f32 v51, v29, v59 :: v_dual_mul_f32 v24, v28, v64
	v_dual_mul_f32 v15, v23, v62 :: v_dual_mul_f32 v52, v14, v64
	v_mul_f32_e32 v29, v11, v62
	v_dual_fmamk_f32 v12, v43, 0xbf5db3d7, v30 :: v_dual_fmac_f32 v31, 0xbf5db3d7, v2
	v_fmac_f32_e32 v30, 0x3f5db3d7, v43
	v_fma_f32 v27, -0.5, v22, v26
	v_fma_f32 v26, -0.5, v32, v9
	v_dual_add_f32 v33, v45, v54 :: v_dual_add_f32 v32, v46, v47
	v_dual_add_f32 v22, v50, v48 :: v_dual_sub_f32 v45, v49, v51
	v_dual_add_f32 v43, v25, v49 :: v_dual_add_f32 v46, v8, v50
	v_fma_f32 v11, v11, v61, -v15
	v_fma_f32 v47, v14, v63, -v24
	v_dual_fmac_f32 v29, v23, v61 :: v_dual_fmac_f32 v52, v28, v63
	v_dual_sub_f32 v2, v50, v48 :: v_dual_add_f32 v9, v49, v51
	v_fma_f32 v8, -0.5, v22, v8
	s_delay_alu instid0(VALU_DEP_3)
	v_dual_add_f32 v23, v43, v51 :: v_dual_add_f32 v28, v29, v52
	v_add_f32_e32 v43, v11, v47
	v_dual_fmamk_f32 v15, v7, 0x3f5db3d7, v27 :: v_dual_add_f32 v22, v46, v48
	v_dual_fmamk_f32 v14, v36, 0xbf5db3d7, v26 :: v_dual_fmac_f32 v27, 0xbf5db3d7, v7
	v_fma_f32 v9, -0.5, v9, v25
	v_dual_sub_f32 v7, v11, v47 :: v_dual_sub_f32 v46, v29, v52
	v_dual_add_f32 v29, v10, v29 :: v_dual_add_f32 v48, v44, v11
	v_fmamk_f32 v24, v45, 0xbf5db3d7, v8
	v_fma_f32 v11, -0.5, v28, v10
	v_fma_f32 v10, -0.5, v43, v44
	s_delay_alu instid0(VALU_DEP_4) | instskip(NEXT) | instid1(VALU_DEP_3)
	v_dual_fmamk_f32 v25, v2, 0x3f5db3d7, v9 :: v_dual_add_f32 v28, v48, v47
	v_dual_add_f32 v29, v29, v52 :: v_dual_fmamk_f32 v44, v7, 0x3f5db3d7, v11
	s_delay_alu instid0(VALU_DEP_3)
	v_fmamk_f32 v43, v46, 0xbf5db3d7, v10
	v_fmac_f32_e32 v11, 0xbf5db3d7, v7
	v_fmac_f32_e32 v10, 0x3f5db3d7, v46
	;; [unrolled: 1-line block ×5, first 2 shown]
	s_clause 0xe
	global_store_b64 v[5:6], v[28:29], off
	global_store_b64 v[5:6], v[22:23], off offset:600
	global_store_b64 v[5:6], v[10:11], off offset:3200
	;; [unrolled: 1-line block ×14, first 2 shown]
	s_and_b32 exec_lo, exec_lo, s0
	s_cbranch_execz .LBB0_31
; %bb.30:
	v_mov_b32_e32 v2, 0x177
	s_delay_alu instid0(VALU_DEP_1) | instskip(NEXT) | instid1(VALU_DEP_1)
	v_cndmask_b32_e64 v2, 0xffffffe7, v2, s0
	v_add_lshl_u32 v2, v4, v2, 1
	s_delay_alu instid0(VALU_DEP_1) | instskip(NEXT) | instid1(VALU_DEP_1)
	v_lshlrev_b64_e32 v[2:3], 3, v[2:3]
	v_add_co_u32 v2, vcc_lo, s4, v2
	s_wait_alu 0xfffd
	s_delay_alu instid0(VALU_DEP_2) | instskip(SKIP_3) | instid1(VALU_DEP_1)
	v_add_co_ci_u32_e32 v3, vcc_lo, s5, v3, vcc_lo
	global_load_b128 v[7:10], v[2:3], off offset:3160
	s_wait_loadcnt 0x0
	v_dual_mul_f32 v3, v40, v10 :: v_dual_mul_f32 v2, v39, v8
	v_fma_f32 v3, v38, v9, -v3
	v_mul_f32_e32 v4, v37, v8
	v_mul_f32_e32 v8, v38, v10
	s_delay_alu instid0(VALU_DEP_2) | instskip(NEXT) | instid1(VALU_DEP_2)
	v_fmac_f32_e32 v4, v39, v7
	v_fmac_f32_e32 v8, v40, v9
	s_delay_alu instid0(VALU_DEP_1) | instskip(SKIP_1) | instid1(VALU_DEP_2)
	v_add_f32_e32 v10, v4, v8
	v_sub_f32_e32 v11, v4, v8
	v_dual_add_f32 v4, v1, v4 :: v_dual_fmac_f32 v1, -0.5, v10
	v_fma_f32 v2, v37, v7, -v2
	s_delay_alu instid0(VALU_DEP_1) | instskip(SKIP_1) | instid1(VALU_DEP_2)
	v_add_f32_e32 v7, v2, v3
	v_dual_add_f32 v9, v0, v2 :: v_dual_sub_f32 v12, v2, v3
	v_fmac_f32_e32 v0, -0.5, v7
	s_delay_alu instid0(VALU_DEP_2) | instskip(NEXT) | instid1(VALU_DEP_3)
	v_dual_add_f32 v2, v9, v3 :: v_dual_add_f32 v3, v4, v8
	v_fmamk_f32 v8, v12, 0xbf5db3d7, v1
	v_fmac_f32_e32 v1, 0x3f5db3d7, v12
	s_delay_alu instid0(VALU_DEP_4)
	v_fmamk_f32 v7, v11, 0x3f5db3d7, v0
	v_fmac_f32_e32 v0, 0xbf5db3d7, v11
	s_clause 0x2
	global_store_b64 v[5:6], v[2:3], off offset:3000
	global_store_b64 v[5:6], v[7:8], off offset:6200
	;; [unrolled: 1-line block ×3, first 2 shown]
.LBB0_31:
	s_nop 0
	s_sendmsg sendmsg(MSG_DEALLOC_VGPRS)
	s_endpgm
	.section	.rodata,"a",@progbits
	.p2align	6, 0x0
	.amdhsa_kernel fft_rtc_fwd_len1200_factors_5_5_16_3_wgs_225_tpt_75_halfLds_sp_ip_CI_unitstride_sbrr_dirReg
		.amdhsa_group_segment_fixed_size 0
		.amdhsa_private_segment_fixed_size 0
		.amdhsa_kernarg_size 88
		.amdhsa_user_sgpr_count 2
		.amdhsa_user_sgpr_dispatch_ptr 0
		.amdhsa_user_sgpr_queue_ptr 0
		.amdhsa_user_sgpr_kernarg_segment_ptr 1
		.amdhsa_user_sgpr_dispatch_id 0
		.amdhsa_user_sgpr_private_segment_size 0
		.amdhsa_wavefront_size32 1
		.amdhsa_uses_dynamic_stack 0
		.amdhsa_enable_private_segment 0
		.amdhsa_system_sgpr_workgroup_id_x 1
		.amdhsa_system_sgpr_workgroup_id_y 0
		.amdhsa_system_sgpr_workgroup_id_z 0
		.amdhsa_system_sgpr_workgroup_info 0
		.amdhsa_system_vgpr_workitem_id 0
		.amdhsa_next_free_vgpr 97
		.amdhsa_next_free_sgpr 32
		.amdhsa_reserve_vcc 1
		.amdhsa_float_round_mode_32 0
		.amdhsa_float_round_mode_16_64 0
		.amdhsa_float_denorm_mode_32 3
		.amdhsa_float_denorm_mode_16_64 3
		.amdhsa_fp16_overflow 0
		.amdhsa_workgroup_processor_mode 1
		.amdhsa_memory_ordered 1
		.amdhsa_forward_progress 0
		.amdhsa_round_robin_scheduling 0
		.amdhsa_exception_fp_ieee_invalid_op 0
		.amdhsa_exception_fp_denorm_src 0
		.amdhsa_exception_fp_ieee_div_zero 0
		.amdhsa_exception_fp_ieee_overflow 0
		.amdhsa_exception_fp_ieee_underflow 0
		.amdhsa_exception_fp_ieee_inexact 0
		.amdhsa_exception_int_div_zero 0
	.end_amdhsa_kernel
	.text
.Lfunc_end0:
	.size	fft_rtc_fwd_len1200_factors_5_5_16_3_wgs_225_tpt_75_halfLds_sp_ip_CI_unitstride_sbrr_dirReg, .Lfunc_end0-fft_rtc_fwd_len1200_factors_5_5_16_3_wgs_225_tpt_75_halfLds_sp_ip_CI_unitstride_sbrr_dirReg
                                        ; -- End function
	.section	.AMDGPU.csdata,"",@progbits
; Kernel info:
; codeLenInByte = 10484
; NumSgprs: 34
; NumVgprs: 97
; ScratchSize: 0
; MemoryBound: 0
; FloatMode: 240
; IeeeMode: 1
; LDSByteSize: 0 bytes/workgroup (compile time only)
; SGPRBlocks: 4
; VGPRBlocks: 12
; NumSGPRsForWavesPerEU: 34
; NumVGPRsForWavesPerEU: 97
; Occupancy: 12
; WaveLimiterHint : 1
; COMPUTE_PGM_RSRC2:SCRATCH_EN: 0
; COMPUTE_PGM_RSRC2:USER_SGPR: 2
; COMPUTE_PGM_RSRC2:TRAP_HANDLER: 0
; COMPUTE_PGM_RSRC2:TGID_X_EN: 1
; COMPUTE_PGM_RSRC2:TGID_Y_EN: 0
; COMPUTE_PGM_RSRC2:TGID_Z_EN: 0
; COMPUTE_PGM_RSRC2:TIDIG_COMP_CNT: 0
	.text
	.p2alignl 7, 3214868480
	.fill 96, 4, 3214868480
	.type	__hip_cuid_6357754abcc6c302,@object ; @__hip_cuid_6357754abcc6c302
	.section	.bss,"aw",@nobits
	.globl	__hip_cuid_6357754abcc6c302
__hip_cuid_6357754abcc6c302:
	.byte	0                               ; 0x0
	.size	__hip_cuid_6357754abcc6c302, 1

	.ident	"AMD clang version 19.0.0git (https://github.com/RadeonOpenCompute/llvm-project roc-6.4.0 25133 c7fe45cf4b819c5991fe208aaa96edf142730f1d)"
	.section	".note.GNU-stack","",@progbits
	.addrsig
	.addrsig_sym __hip_cuid_6357754abcc6c302
	.amdgpu_metadata
---
amdhsa.kernels:
  - .args:
      - .actual_access:  read_only
        .address_space:  global
        .offset:         0
        .size:           8
        .value_kind:     global_buffer
      - .offset:         8
        .size:           8
        .value_kind:     by_value
      - .actual_access:  read_only
        .address_space:  global
        .offset:         16
        .size:           8
        .value_kind:     global_buffer
      - .actual_access:  read_only
        .address_space:  global
        .offset:         24
        .size:           8
        .value_kind:     global_buffer
      - .offset:         32
        .size:           8
        .value_kind:     by_value
      - .actual_access:  read_only
        .address_space:  global
        .offset:         40
        .size:           8
        .value_kind:     global_buffer
      - .actual_access:  read_only
        .address_space:  global
        .offset:         48
        .size:           8
        .value_kind:     global_buffer
      - .offset:         56
        .size:           4
        .value_kind:     by_value
      - .actual_access:  read_only
        .address_space:  global
        .offset:         64
        .size:           8
        .value_kind:     global_buffer
      - .actual_access:  read_only
        .address_space:  global
        .offset:         72
        .size:           8
        .value_kind:     global_buffer
      - .address_space:  global
        .offset:         80
        .size:           8
        .value_kind:     global_buffer
    .group_segment_fixed_size: 0
    .kernarg_segment_align: 8
    .kernarg_segment_size: 88
    .language:       OpenCL C
    .language_version:
      - 2
      - 0
    .max_flat_workgroup_size: 225
    .name:           fft_rtc_fwd_len1200_factors_5_5_16_3_wgs_225_tpt_75_halfLds_sp_ip_CI_unitstride_sbrr_dirReg
    .private_segment_fixed_size: 0
    .sgpr_count:     34
    .sgpr_spill_count: 0
    .symbol:         fft_rtc_fwd_len1200_factors_5_5_16_3_wgs_225_tpt_75_halfLds_sp_ip_CI_unitstride_sbrr_dirReg.kd
    .uniform_work_group_size: 1
    .uses_dynamic_stack: false
    .vgpr_count:     97
    .vgpr_spill_count: 0
    .wavefront_size: 32
    .workgroup_processor_mode: 1
amdhsa.target:   amdgcn-amd-amdhsa--gfx1201
amdhsa.version:
  - 1
  - 2
...

	.end_amdgpu_metadata
